;; amdgpu-corpus repo=pytorch/pytorch kind=compiled arch=gfx1250 opt=O3
	.amdgcn_target "amdgcn-amd-amdhsa--gfx1250"
	.amdhsa_code_object_version 6
	.section	.text._ZN2at6native30tinygemm_m16n8k16_chunk_kernelINS0_10ALayout_RMILNS0_14KReductionTypeE0EEENS0_15BLayout_TC_int4ILi2ELi32EEES4_Li8ELi8EEEvPKvS8_S8_Pviiiiii,"axG",@progbits,_ZN2at6native30tinygemm_m16n8k16_chunk_kernelINS0_10ALayout_RMILNS0_14KReductionTypeE0EEENS0_15BLayout_TC_int4ILi2ELi32EEES4_Li8ELi8EEEvPKvS8_S8_Pviiiiii,comdat
	.protected	_ZN2at6native30tinygemm_m16n8k16_chunk_kernelINS0_10ALayout_RMILNS0_14KReductionTypeE0EEENS0_15BLayout_TC_int4ILi2ELi32EEES4_Li8ELi8EEEvPKvS8_S8_Pviiiiii ; -- Begin function _ZN2at6native30tinygemm_m16n8k16_chunk_kernelINS0_10ALayout_RMILNS0_14KReductionTypeE0EEENS0_15BLayout_TC_int4ILi2ELi32EEES4_Li8ELi8EEEvPKvS8_S8_Pviiiiii
	.globl	_ZN2at6native30tinygemm_m16n8k16_chunk_kernelINS0_10ALayout_RMILNS0_14KReductionTypeE0EEENS0_15BLayout_TC_int4ILi2ELi32EEES4_Li8ELi8EEEvPKvS8_S8_Pviiiiii
	.p2align	8
	.type	_ZN2at6native30tinygemm_m16n8k16_chunk_kernelINS0_10ALayout_RMILNS0_14KReductionTypeE0EEENS0_15BLayout_TC_int4ILi2ELi32EEES4_Li8ELi8EEEvPKvS8_S8_Pviiiiii,@function
_ZN2at6native30tinygemm_m16n8k16_chunk_kernelINS0_10ALayout_RMILNS0_14KReductionTypeE0EEENS0_15BLayout_TC_int4ILi2ELi32EEES4_Li8ELi8EEEvPKvS8_S8_Pviiiiii: ; @_ZN2at6native30tinygemm_m16n8k16_chunk_kernelINS0_10ALayout_RMILNS0_14KReductionTypeE0EEENS0_15BLayout_TC_int4ILi2ELi32EEES4_Li8ELi8EEEvPKvS8_S8_Pviiiiii
; %bb.0:
	s_load_b64 s[2:3], s[0:1], 0x88
	v_mbcnt_lo_u32_b32 v32, -1, 0
	v_mov_b64_e32 v[2:3], 0
	s_wait_xcnt 0x0
	s_delay_alu instid0(VALU_DEP_2) | instskip(NEXT) | instid1(VALU_DEP_1)
	v_readfirstlane_b32 s0, v32
	v_cmp_eq_u32_e64 s0, s0, v32
	s_and_saveexec_b32 s1, s0
	s_cbranch_execz .LBB0_6
; %bb.1:
	v_mov_b32_e32 v0, 0
	s_mov_b32 s4, exec_lo
	s_wait_kmcnt 0x0
	global_load_b64 v[4:5], v0, s[2:3] offset:24 scope:SCOPE_SYS
	s_wait_loadcnt 0x0
	global_inv scope:SCOPE_SYS
	s_clause 0x1
	global_load_b64 v[2:3], v0, s[2:3] offset:40
	global_load_b64 v[6:7], v0, s[2:3]
	s_wait_loadcnt 0x1
	v_and_b32_e32 v2, v2, v4
	v_and_b32_e32 v3, v3, v5
	s_delay_alu instid0(VALU_DEP_1) | instskip(SKIP_1) | instid1(VALU_DEP_1)
	v_mul_u64_e32 v[2:3], 24, v[2:3]
	s_wait_loadcnt 0x0
	v_add_nc_u64_e32 v[2:3], v[6:7], v[2:3]
	global_load_b64 v[2:3], v[2:3], off scope:SCOPE_SYS
	s_wait_xcnt 0x0
	s_wait_loadcnt 0x0
	global_atomic_cmpswap_b64 v[2:3], v0, v[2:5], s[2:3] offset:24 th:TH_ATOMIC_RETURN scope:SCOPE_SYS
	s_wait_loadcnt 0x0
	global_inv scope:SCOPE_SYS
	s_wait_xcnt 0x0
	v_cmpx_ne_u64_e64 v[2:3], v[4:5]
	s_cbranch_execz .LBB0_5
; %bb.2:
	s_mov_b32 s5, 0
.LBB0_3:                                ; =>This Inner Loop Header: Depth=1
	s_sleep 1
	s_clause 0x1
	global_load_b64 v[6:7], v0, s[2:3] offset:40
	global_load_b64 v[8:9], v0, s[2:3]
	v_mov_b64_e32 v[4:5], v[2:3]
	s_wait_loadcnt 0x1
	s_delay_alu instid0(VALU_DEP_1) | instskip(SKIP_1) | instid1(VALU_DEP_1)
	v_and_b32_e32 v1, v6, v4
	s_wait_loadcnt 0x0
	v_mad_nc_u64_u32 v[2:3], v1, 24, v[8:9]
	s_delay_alu instid0(VALU_DEP_3) | instskip(NEXT) | instid1(VALU_DEP_1)
	v_and_b32_e32 v1, v7, v5
	v_mad_u32 v3, v1, 24, v3
	global_load_b64 v[2:3], v[2:3], off scope:SCOPE_SYS
	s_wait_xcnt 0x0
	s_wait_loadcnt 0x0
	global_atomic_cmpswap_b64 v[2:3], v0, v[2:5], s[2:3] offset:24 th:TH_ATOMIC_RETURN scope:SCOPE_SYS
	s_wait_loadcnt 0x0
	global_inv scope:SCOPE_SYS
	v_cmp_eq_u64_e32 vcc_lo, v[2:3], v[4:5]
	s_or_b32 s5, vcc_lo, s5
	s_wait_xcnt 0x0
	s_and_not1_b32 exec_lo, exec_lo, s5
	s_cbranch_execnz .LBB0_3
; %bb.4:
	s_or_b32 exec_lo, exec_lo, s5
.LBB0_5:
	s_delay_alu instid0(SALU_CYCLE_1)
	s_or_b32 exec_lo, exec_lo, s4
.LBB0_6:
	s_delay_alu instid0(SALU_CYCLE_1)
	s_or_b32 exec_lo, exec_lo, s1
	v_readfirstlane_b32 s4, v2
	v_mov_b32_e32 v1, 0
	v_readfirstlane_b32 s5, v3
	s_mov_b32 s1, exec_lo
	s_wait_kmcnt 0x0
	s_clause 0x1
	global_load_b64 v[8:9], v1, s[2:3] offset:40
	global_load_b128 v[4:7], v1, s[2:3]
	s_wait_loadcnt 0x1
	v_and_b32_e32 v10, s4, v8
	v_and_b32_e32 v11, s5, v9
	s_delay_alu instid0(VALU_DEP_1) | instskip(SKIP_1) | instid1(VALU_DEP_1)
	v_mul_u64_e32 v[2:3], 24, v[10:11]
	s_wait_loadcnt 0x0
	v_add_nc_u64_e32 v[8:9], v[4:5], v[2:3]
	s_and_saveexec_b32 s6, s0
	s_cbranch_execz .LBB0_8
; %bb.7:
	v_mov_b64_e32 v[2:3], 0x100000002
	v_mov_b32_e32 v0, s1
	global_store_b128 v[8:9], v[0:3], off offset:8
.LBB0_8:
	s_wait_xcnt 0x0
	s_or_b32 exec_lo, exec_lo, s6
	v_lshlrev_b64_e32 v[2:3], 12, v[10:11]
	s_mov_b32 s8, 0
	v_dual_lshlrev_b32 v0, 6, v32 :: v_dual_mov_b32 v10, 33
	s_mov_b32 s10, s8
	s_mov_b32 s11, s8
	;; [unrolled: 1-line block ×3, first 2 shown]
	s_delay_alu instid0(VALU_DEP_2)
	v_add_nc_u64_e32 v[6:7], v[6:7], v[2:3]
	v_mov_b64_e32 v[16:17], s[10:11]
	v_mov_b64_e32 v[14:15], s[8:9]
	v_dual_mov_b32 v11, v1 :: v_dual_mov_b32 v12, v1
	v_mov_b32_e32 v13, v1
	v_readfirstlane_b32 s6, v6
	v_readfirstlane_b32 s7, v7
	s_clause 0x3
	global_store_b128 v0, v[10:13], s[6:7]
	global_store_b128 v0, v[14:17], s[6:7] offset:16
	global_store_b128 v0, v[14:17], s[6:7] offset:32
	;; [unrolled: 1-line block ×3, first 2 shown]
	s_wait_xcnt 0x0
	s_and_saveexec_b32 s1, s0
	s_cbranch_execz .LBB0_16
; %bb.9:
	v_dual_mov_b32 v12, 0 :: v_dual_mov_b32 v15, s5
	s_mov_b32 s6, exec_lo
	s_clause 0x1
	global_load_b64 v[16:17], v12, s[2:3] offset:32 scope:SCOPE_SYS
	global_load_b64 v[2:3], v12, s[2:3] offset:40
	s_wait_loadcnt 0x0
	v_dual_mov_b32 v14, s4 :: v_dual_bitop2_b32 v3, s5, v3 bitop3:0x40
	v_and_b32_e32 v2, s4, v2
	s_delay_alu instid0(VALU_DEP_1) | instskip(NEXT) | instid1(VALU_DEP_1)
	v_mul_u64_e32 v[2:3], 24, v[2:3]
	v_add_nc_u64_e32 v[10:11], v[4:5], v[2:3]
	global_store_b64 v[10:11], v[16:17], off
	global_wb scope:SCOPE_SYS
	s_wait_storecnt 0x0
	s_wait_xcnt 0x0
	global_atomic_cmpswap_b64 v[4:5], v12, v[14:17], s[2:3] offset:32 th:TH_ATOMIC_RETURN scope:SCOPE_SYS
	s_wait_loadcnt 0x0
	v_cmpx_ne_u64_e64 v[4:5], v[16:17]
	s_cbranch_execz .LBB0_12
; %bb.10:
	s_mov_b32 s7, 0
.LBB0_11:                               ; =>This Inner Loop Header: Depth=1
	v_dual_mov_b32 v2, s4 :: v_dual_mov_b32 v3, s5
	s_sleep 1
	global_store_b64 v[10:11], v[4:5], off
	global_wb scope:SCOPE_SYS
	s_wait_storecnt 0x0
	s_wait_xcnt 0x0
	global_atomic_cmpswap_b64 v[2:3], v12, v[2:5], s[2:3] offset:32 th:TH_ATOMIC_RETURN scope:SCOPE_SYS
	s_wait_loadcnt 0x0
	v_cmp_eq_u64_e32 vcc_lo, v[2:3], v[4:5]
	v_mov_b64_e32 v[4:5], v[2:3]
	s_or_b32 s7, vcc_lo, s7
	s_delay_alu instid0(SALU_CYCLE_1)
	s_and_not1_b32 exec_lo, exec_lo, s7
	s_cbranch_execnz .LBB0_11
.LBB0_12:
	s_or_b32 exec_lo, exec_lo, s6
	v_mov_b32_e32 v5, 0
	s_mov_b32 s7, exec_lo
	s_mov_b32 s6, exec_lo
	v_mbcnt_lo_u32_b32 v4, s7, 0
	global_load_b64 v[2:3], v5, s[2:3] offset:16
	s_wait_xcnt 0x0
	v_cmpx_eq_u32_e32 0, v4
	s_cbranch_execz .LBB0_14
; %bb.13:
	s_bcnt1_i32_b32 s7, s7
	s_delay_alu instid0(SALU_CYCLE_1)
	v_mov_b32_e32 v4, s7
	global_wb scope:SCOPE_SYS
	s_wait_loadcnt 0x0
	s_wait_storecnt 0x0
	global_atomic_add_u64 v[2:3], v[4:5], off offset:8 scope:SCOPE_SYS
.LBB0_14:
	s_wait_xcnt 0x0
	s_or_b32 exec_lo, exec_lo, s6
	s_wait_loadcnt 0x0
	global_load_b64 v[4:5], v[2:3], off offset:16
	s_wait_loadcnt 0x0
	v_cmp_eq_u64_e32 vcc_lo, 0, v[4:5]
	s_cbranch_vccnz .LBB0_16
; %bb.15:
	global_load_b32 v2, v[2:3], off offset:24
	s_wait_xcnt 0x0
	v_mov_b32_e32 v3, 0
	s_wait_loadcnt 0x0
	v_readfirstlane_b32 s6, v2
	global_wb scope:SCOPE_SYS
	s_wait_storecnt 0x0
	global_store_b64 v[4:5], v[2:3], off scope:SCOPE_SYS
	s_and_b32 m0, s6, 0xffffff
	s_sendmsg sendmsg(MSG_INTERRUPT)
.LBB0_16:
	s_wait_xcnt 0x0
	s_or_b32 exec_lo, exec_lo, s1
	v_add_nc_u64_e32 v[2:3], v[6:7], v[0:1]
	s_branch .LBB0_20
.LBB0_17:                               ;   in Loop: Header=BB0_20 Depth=1
	s_wait_xcnt 0x0
	s_or_b32 exec_lo, exec_lo, s1
	s_delay_alu instid0(VALU_DEP_1)
	v_readfirstlane_b32 s1, v1
	s_cmp_eq_u32 s1, 0
	s_cbranch_scc1 .LBB0_19
; %bb.18:                               ;   in Loop: Header=BB0_20 Depth=1
	s_sleep 1
	s_cbranch_execnz .LBB0_20
	s_branch .LBB0_22
.LBB0_19:
	s_branch .LBB0_22
.LBB0_20:                               ; =>This Inner Loop Header: Depth=1
	v_mov_b32_e32 v1, 1
	s_and_saveexec_b32 s1, s0
	s_cbranch_execz .LBB0_17
; %bb.21:                               ;   in Loop: Header=BB0_20 Depth=1
	global_load_b32 v1, v[8:9], off offset:20 scope:SCOPE_SYS
	s_wait_loadcnt 0x0
	global_inv scope:SCOPE_SYS
	v_and_b32_e32 v1, 1, v1
	s_branch .LBB0_17
.LBB0_22:
	global_load_b64 v[2:3], v[2:3], off
	s_wait_xcnt 0x0
	s_and_saveexec_b32 s6, s0
	s_cbranch_execz .LBB0_26
; %bb.23:
	v_mov_b32_e32 v1, 0
	s_clause 0x2
	global_load_b64 v[4:5], v1, s[2:3] offset:40
	global_load_b64 v[12:13], v1, s[2:3] offset:24 scope:SCOPE_SYS
	global_load_b64 v[6:7], v1, s[2:3]
	s_wait_loadcnt 0x2
	v_readfirstlane_b32 s8, v4
	v_readfirstlane_b32 s9, v5
	s_add_nc_u64 s[0:1], s[8:9], 1
	s_delay_alu instid0(SALU_CYCLE_1) | instskip(NEXT) | instid1(SALU_CYCLE_1)
	s_add_nc_u64 s[4:5], s[0:1], s[4:5]
	s_cmp_eq_u64 s[4:5], 0
	s_cselect_b32 s1, s1, s5
	s_cselect_b32 s0, s0, s4
	v_mov_b32_e32 v11, s1
	s_and_b64 s[4:5], s[0:1], s[8:9]
	v_mov_b32_e32 v10, s0
	s_mul_u64 s[4:5], s[4:5], 24
	s_wait_loadcnt 0x0
	v_add_nc_u64_e32 v[8:9], s[4:5], v[6:7]
	global_store_b64 v[8:9], v[12:13], off
	global_wb scope:SCOPE_SYS
	s_wait_storecnt 0x0
	s_wait_xcnt 0x0
	global_atomic_cmpswap_b64 v[6:7], v1, v[10:13], s[2:3] offset:24 th:TH_ATOMIC_RETURN scope:SCOPE_SYS
	s_wait_loadcnt 0x0
	v_cmp_ne_u64_e32 vcc_lo, v[6:7], v[12:13]
	s_and_b32 exec_lo, exec_lo, vcc_lo
	s_cbranch_execz .LBB0_26
; %bb.24:
	s_mov_b32 s4, 0
.LBB0_25:                               ; =>This Inner Loop Header: Depth=1
	v_dual_mov_b32 v4, s0 :: v_dual_mov_b32 v5, s1
	s_sleep 1
	global_store_b64 v[8:9], v[6:7], off
	global_wb scope:SCOPE_SYS
	s_wait_storecnt 0x0
	s_wait_xcnt 0x0
	global_atomic_cmpswap_b64 v[4:5], v1, v[4:7], s[2:3] offset:24 th:TH_ATOMIC_RETURN scope:SCOPE_SYS
	s_wait_loadcnt 0x0
	v_cmp_eq_u64_e32 vcc_lo, v[4:5], v[6:7]
	v_mov_b64_e32 v[6:7], v[4:5]
	s_or_b32 s4, vcc_lo, s4
	s_delay_alu instid0(SALU_CYCLE_1)
	s_and_not1_b32 exec_lo, exec_lo, s4
	s_cbranch_execnz .LBB0_25
.LBB0_26:
	s_or_b32 exec_lo, exec_lo, s6
	s_get_pc_i64 s[4:5]
	s_add_nc_u64 s[4:5], s[4:5], .str@rel64+4
	s_mov_b64 s[6:7], 0
	s_cmp_lg_u64 s[4:5], 0
	s_cselect_b32 s8, -1, 0
	s_cmp_eq_u64 s[4:5], 0
	s_cbranch_scc1 .LBB0_30
; %bb.27:
	s_get_pc_i64 s[0:1]
	s_add_nc_u64 s[0:1], s[0:1], .str@rel64+3
.LBB0_28:                               ; =>This Inner Loop Header: Depth=1
	s_load_u8 s6, s[0:1], 0x1
	s_wait_xcnt 0x0
	s_add_nc_u64 s[0:1], s[0:1], 1
	s_wait_kmcnt 0x0
	s_cmp_lg_u32 s6, 0
	s_cbranch_scc1 .LBB0_28
; %bb.29:
	s_get_pc_i64 s[6:7]
	s_add_nc_u64 s[6:7], s[6:7], .str@rel64+4
	s_delay_alu instid0(SALU_CYCLE_1) | instskip(NEXT) | instid1(SALU_CYCLE_1)
	s_sub_nc_u64 s[0:1], s[0:1], s[6:7]
	s_add_nc_u64 s[6:7], s[0:1], 1
.LBB0_30:
	s_and_b32 vcc_lo, exec_lo, s8
	s_cbranch_vccz .LBB0_109
; %bb.31:
	v_mov_b64_e32 v[6:7], 0x100000002
	s_wait_loadcnt 0x0
	v_dual_mov_b32 v9, v3 :: v_dual_bitop2_b32 v8, -3, v2 bitop3:0x40
	v_mov_b32_e32 v5, 0
	s_branch .LBB0_33
.LBB0_32:                               ;   in Loop: Header=BB0_33 Depth=1
	s_or_b32 exec_lo, exec_lo, s12
	s_sub_nc_u64 s[6:7], s[6:7], s[8:9]
	s_add_nc_u64 s[4:5], s[4:5], s[8:9]
	s_cmp_lg_u64 s[6:7], 0
	s_cbranch_scc0 .LBB0_108
.LBB0_33:                               ; =>This Loop Header: Depth=1
                                        ;     Child Loop BB0_36 Depth 2
                                        ;     Child Loop BB0_43 Depth 2
	;; [unrolled: 1-line block ×11, first 2 shown]
	s_wait_loadcnt 0x0
	v_min_u64 v[10:11], s[6:7], 56
	v_cmp_gt_u64_e64 s0, s[6:7], 7
	s_and_b32 vcc_lo, exec_lo, s0
	v_readfirstlane_b32 s8, v10
	v_readfirstlane_b32 s9, v11
	s_cbranch_vccnz .LBB0_38
; %bb.34:                               ;   in Loop: Header=BB0_33 Depth=1
	v_mov_b64_e32 v[10:11], 0
	s_cmp_eq_u64 s[6:7], 0
	s_cbranch_scc1 .LBB0_37
; %bb.35:                               ;   in Loop: Header=BB0_33 Depth=1
	s_mov_b64 s[0:1], 0
	s_mov_b64 s[10:11], 0
.LBB0_36:                               ;   Parent Loop BB0_33 Depth=1
                                        ; =>  This Inner Loop Header: Depth=2
	s_wait_xcnt 0x0
	s_add_nc_u64 s[12:13], s[4:5], s[10:11]
	s_add_nc_u64 s[10:11], s[10:11], 1
	global_load_u8 v1, v5, s[12:13]
	s_cmp_lg_u32 s8, s10
	s_wait_loadcnt 0x0
	v_and_b32_e32 v4, 0xffff, v1
	s_delay_alu instid0(VALU_DEP_1) | instskip(SKIP_1) | instid1(VALU_DEP_1)
	v_lshlrev_b64_e32 v[12:13], s0, v[4:5]
	s_add_nc_u64 s[0:1], s[0:1], 8
	v_or_b32_e32 v10, v12, v10
	s_delay_alu instid0(VALU_DEP_2)
	v_or_b32_e32 v11, v13, v11
	s_cbranch_scc1 .LBB0_36
.LBB0_37:                               ;   in Loop: Header=BB0_33 Depth=1
	s_mov_b64 s[10:11], s[4:5]
	s_mov_b32 s14, 0
	s_cbranch_execz .LBB0_39
	s_branch .LBB0_40
.LBB0_38:                               ;   in Loop: Header=BB0_33 Depth=1
	s_add_nc_u64 s[10:11], s[4:5], 8
	s_mov_b32 s14, 0
.LBB0_39:                               ;   in Loop: Header=BB0_33 Depth=1
	global_load_b64 v[10:11], v5, s[4:5]
	s_add_co_i32 s14, s8, -8
.LBB0_40:                               ;   in Loop: Header=BB0_33 Depth=1
	s_delay_alu instid0(SALU_CYCLE_1)
	s_cmp_gt_u32 s14, 7
	s_cbranch_scc1 .LBB0_45
; %bb.41:                               ;   in Loop: Header=BB0_33 Depth=1
	v_mov_b64_e32 v[12:13], 0
	s_cmp_eq_u32 s14, 0
	s_cbranch_scc1 .LBB0_44
; %bb.42:                               ;   in Loop: Header=BB0_33 Depth=1
	s_mov_b64 s[0:1], 0
	s_wait_xcnt 0x0
	s_mov_b64 s[12:13], 0
.LBB0_43:                               ;   Parent Loop BB0_33 Depth=1
                                        ; =>  This Inner Loop Header: Depth=2
	s_wait_xcnt 0x0
	s_add_nc_u64 s[16:17], s[10:11], s[12:13]
	s_add_nc_u64 s[12:13], s[12:13], 1
	global_load_u8 v1, v5, s[16:17]
	s_cmp_lg_u32 s14, s12
	s_wait_loadcnt 0x0
	v_and_b32_e32 v4, 0xffff, v1
	s_delay_alu instid0(VALU_DEP_1) | instskip(SKIP_1) | instid1(VALU_DEP_1)
	v_lshlrev_b64_e32 v[14:15], s0, v[4:5]
	s_add_nc_u64 s[0:1], s[0:1], 8
	v_or_b32_e32 v12, v14, v12
	s_delay_alu instid0(VALU_DEP_2)
	v_or_b32_e32 v13, v15, v13
	s_cbranch_scc1 .LBB0_43
.LBB0_44:                               ;   in Loop: Header=BB0_33 Depth=1
	s_wait_xcnt 0x0
	s_mov_b64 s[0:1], s[10:11]
	s_mov_b32 s15, 0
	s_cbranch_execz .LBB0_46
	s_branch .LBB0_47
.LBB0_45:                               ;   in Loop: Header=BB0_33 Depth=1
	s_add_nc_u64 s[0:1], s[10:11], 8
	s_wait_xcnt 0x0
                                        ; implicit-def: $vgpr12_vgpr13
	s_mov_b32 s15, 0
.LBB0_46:                               ;   in Loop: Header=BB0_33 Depth=1
	global_load_b64 v[12:13], v5, s[10:11]
	s_add_co_i32 s15, s14, -8
.LBB0_47:                               ;   in Loop: Header=BB0_33 Depth=1
	s_delay_alu instid0(SALU_CYCLE_1)
	s_cmp_gt_u32 s15, 7
	s_cbranch_scc1 .LBB0_52
; %bb.48:                               ;   in Loop: Header=BB0_33 Depth=1
	v_mov_b64_e32 v[14:15], 0
	s_cmp_eq_u32 s15, 0
	s_cbranch_scc1 .LBB0_51
; %bb.49:                               ;   in Loop: Header=BB0_33 Depth=1
	s_wait_xcnt 0x0
	s_mov_b64 s[10:11], 0
	s_mov_b64 s[12:13], 0
.LBB0_50:                               ;   Parent Loop BB0_33 Depth=1
                                        ; =>  This Inner Loop Header: Depth=2
	s_wait_xcnt 0x0
	s_add_nc_u64 s[16:17], s[0:1], s[12:13]
	s_add_nc_u64 s[12:13], s[12:13], 1
	global_load_u8 v1, v5, s[16:17]
	s_cmp_lg_u32 s15, s12
	s_wait_loadcnt 0x0
	v_and_b32_e32 v4, 0xffff, v1
	s_delay_alu instid0(VALU_DEP_1) | instskip(SKIP_1) | instid1(VALU_DEP_1)
	v_lshlrev_b64_e32 v[16:17], s10, v[4:5]
	s_add_nc_u64 s[10:11], s[10:11], 8
	v_or_b32_e32 v14, v16, v14
	s_delay_alu instid0(VALU_DEP_2)
	v_or_b32_e32 v15, v17, v15
	s_cbranch_scc1 .LBB0_50
.LBB0_51:                               ;   in Loop: Header=BB0_33 Depth=1
	s_wait_xcnt 0x0
	s_mov_b64 s[10:11], s[0:1]
	s_mov_b32 s14, 0
	s_cbranch_execz .LBB0_53
	s_branch .LBB0_54
.LBB0_52:                               ;   in Loop: Header=BB0_33 Depth=1
	s_wait_xcnt 0x0
	s_add_nc_u64 s[10:11], s[0:1], 8
	s_mov_b32 s14, 0
.LBB0_53:                               ;   in Loop: Header=BB0_33 Depth=1
	global_load_b64 v[14:15], v5, s[0:1]
	s_add_co_i32 s14, s15, -8
.LBB0_54:                               ;   in Loop: Header=BB0_33 Depth=1
	s_delay_alu instid0(SALU_CYCLE_1)
	s_cmp_gt_u32 s14, 7
	s_cbranch_scc1 .LBB0_59
; %bb.55:                               ;   in Loop: Header=BB0_33 Depth=1
	v_mov_b64_e32 v[16:17], 0
	s_cmp_eq_u32 s14, 0
	s_cbranch_scc1 .LBB0_58
; %bb.56:                               ;   in Loop: Header=BB0_33 Depth=1
	s_wait_xcnt 0x0
	s_mov_b64 s[0:1], 0
	s_mov_b64 s[12:13], 0
.LBB0_57:                               ;   Parent Loop BB0_33 Depth=1
                                        ; =>  This Inner Loop Header: Depth=2
	s_wait_xcnt 0x0
	s_add_nc_u64 s[16:17], s[10:11], s[12:13]
	s_add_nc_u64 s[12:13], s[12:13], 1
	global_load_u8 v1, v5, s[16:17]
	s_cmp_lg_u32 s14, s12
	s_wait_loadcnt 0x0
	v_and_b32_e32 v4, 0xffff, v1
	s_delay_alu instid0(VALU_DEP_1) | instskip(SKIP_1) | instid1(VALU_DEP_1)
	v_lshlrev_b64_e32 v[18:19], s0, v[4:5]
	s_add_nc_u64 s[0:1], s[0:1], 8
	v_or_b32_e32 v16, v18, v16
	s_delay_alu instid0(VALU_DEP_2)
	v_or_b32_e32 v17, v19, v17
	s_cbranch_scc1 .LBB0_57
.LBB0_58:                               ;   in Loop: Header=BB0_33 Depth=1
	s_wait_xcnt 0x0
	s_mov_b64 s[0:1], s[10:11]
	s_mov_b32 s15, 0
	s_cbranch_execz .LBB0_60
	s_branch .LBB0_61
.LBB0_59:                               ;   in Loop: Header=BB0_33 Depth=1
	s_wait_xcnt 0x0
	s_add_nc_u64 s[0:1], s[10:11], 8
                                        ; implicit-def: $vgpr16_vgpr17
	s_mov_b32 s15, 0
.LBB0_60:                               ;   in Loop: Header=BB0_33 Depth=1
	global_load_b64 v[16:17], v5, s[10:11]
	s_add_co_i32 s15, s14, -8
.LBB0_61:                               ;   in Loop: Header=BB0_33 Depth=1
	s_delay_alu instid0(SALU_CYCLE_1)
	s_cmp_gt_u32 s15, 7
	s_cbranch_scc1 .LBB0_66
; %bb.62:                               ;   in Loop: Header=BB0_33 Depth=1
	v_mov_b64_e32 v[18:19], 0
	s_cmp_eq_u32 s15, 0
	s_cbranch_scc1 .LBB0_65
; %bb.63:                               ;   in Loop: Header=BB0_33 Depth=1
	s_wait_xcnt 0x0
	s_mov_b64 s[10:11], 0
	s_mov_b64 s[12:13], 0
.LBB0_64:                               ;   Parent Loop BB0_33 Depth=1
                                        ; =>  This Inner Loop Header: Depth=2
	s_wait_xcnt 0x0
	s_add_nc_u64 s[16:17], s[0:1], s[12:13]
	s_add_nc_u64 s[12:13], s[12:13], 1
	global_load_u8 v1, v5, s[16:17]
	s_cmp_lg_u32 s15, s12
	s_wait_loadcnt 0x0
	v_and_b32_e32 v4, 0xffff, v1
	s_delay_alu instid0(VALU_DEP_1) | instskip(SKIP_1) | instid1(VALU_DEP_1)
	v_lshlrev_b64_e32 v[20:21], s10, v[4:5]
	s_add_nc_u64 s[10:11], s[10:11], 8
	v_or_b32_e32 v18, v20, v18
	s_delay_alu instid0(VALU_DEP_2)
	v_or_b32_e32 v19, v21, v19
	s_cbranch_scc1 .LBB0_64
.LBB0_65:                               ;   in Loop: Header=BB0_33 Depth=1
	s_wait_xcnt 0x0
	s_mov_b64 s[10:11], s[0:1]
	s_mov_b32 s14, 0
	s_cbranch_execz .LBB0_67
	s_branch .LBB0_68
.LBB0_66:                               ;   in Loop: Header=BB0_33 Depth=1
	s_wait_xcnt 0x0
	s_add_nc_u64 s[10:11], s[0:1], 8
	s_mov_b32 s14, 0
.LBB0_67:                               ;   in Loop: Header=BB0_33 Depth=1
	global_load_b64 v[18:19], v5, s[0:1]
	s_add_co_i32 s14, s15, -8
.LBB0_68:                               ;   in Loop: Header=BB0_33 Depth=1
	s_delay_alu instid0(SALU_CYCLE_1)
	s_cmp_gt_u32 s14, 7
	s_cbranch_scc1 .LBB0_73
; %bb.69:                               ;   in Loop: Header=BB0_33 Depth=1
	v_mov_b64_e32 v[20:21], 0
	s_cmp_eq_u32 s14, 0
	s_cbranch_scc1 .LBB0_72
; %bb.70:                               ;   in Loop: Header=BB0_33 Depth=1
	s_wait_xcnt 0x0
	s_mov_b64 s[0:1], 0
	s_mov_b64 s[12:13], 0
.LBB0_71:                               ;   Parent Loop BB0_33 Depth=1
                                        ; =>  This Inner Loop Header: Depth=2
	s_wait_xcnt 0x0
	s_add_nc_u64 s[16:17], s[10:11], s[12:13]
	s_add_nc_u64 s[12:13], s[12:13], 1
	global_load_u8 v1, v5, s[16:17]
	s_cmp_lg_u32 s14, s12
	s_wait_loadcnt 0x0
	v_and_b32_e32 v4, 0xffff, v1
	s_delay_alu instid0(VALU_DEP_1) | instskip(SKIP_1) | instid1(VALU_DEP_1)
	v_lshlrev_b64_e32 v[22:23], s0, v[4:5]
	s_add_nc_u64 s[0:1], s[0:1], 8
	v_or_b32_e32 v20, v22, v20
	s_delay_alu instid0(VALU_DEP_2)
	v_or_b32_e32 v21, v23, v21
	s_cbranch_scc1 .LBB0_71
.LBB0_72:                               ;   in Loop: Header=BB0_33 Depth=1
	s_wait_xcnt 0x0
	s_mov_b64 s[0:1], s[10:11]
	s_mov_b32 s15, 0
	s_cbranch_execz .LBB0_74
	s_branch .LBB0_75
.LBB0_73:                               ;   in Loop: Header=BB0_33 Depth=1
	s_wait_xcnt 0x0
	s_add_nc_u64 s[0:1], s[10:11], 8
                                        ; implicit-def: $vgpr20_vgpr21
	s_mov_b32 s15, 0
.LBB0_74:                               ;   in Loop: Header=BB0_33 Depth=1
	global_load_b64 v[20:21], v5, s[10:11]
	s_add_co_i32 s15, s14, -8
.LBB0_75:                               ;   in Loop: Header=BB0_33 Depth=1
	s_delay_alu instid0(SALU_CYCLE_1)
	s_cmp_gt_u32 s15, 7
	s_cbranch_scc1 .LBB0_80
; %bb.76:                               ;   in Loop: Header=BB0_33 Depth=1
	v_mov_b64_e32 v[22:23], 0
	s_cmp_eq_u32 s15, 0
	s_cbranch_scc1 .LBB0_79
; %bb.77:                               ;   in Loop: Header=BB0_33 Depth=1
	s_wait_xcnt 0x0
	s_mov_b64 s[10:11], 0
	s_mov_b64 s[12:13], s[0:1]
.LBB0_78:                               ;   Parent Loop BB0_33 Depth=1
                                        ; =>  This Inner Loop Header: Depth=2
	global_load_u8 v1, v5, s[12:13]
	s_add_co_i32 s15, s15, -1
	s_wait_xcnt 0x0
	s_add_nc_u64 s[12:13], s[12:13], 1
	s_cmp_lg_u32 s15, 0
	s_wait_loadcnt 0x0
	v_and_b32_e32 v4, 0xffff, v1
	s_delay_alu instid0(VALU_DEP_1) | instskip(SKIP_1) | instid1(VALU_DEP_1)
	v_lshlrev_b64_e32 v[24:25], s10, v[4:5]
	s_add_nc_u64 s[10:11], s[10:11], 8
	v_or_b32_e32 v22, v24, v22
	s_delay_alu instid0(VALU_DEP_2)
	v_or_b32_e32 v23, v25, v23
	s_cbranch_scc1 .LBB0_78
.LBB0_79:                               ;   in Loop: Header=BB0_33 Depth=1
	s_wait_xcnt 0x0
	s_cbranch_execz .LBB0_81
	s_branch .LBB0_82
.LBB0_80:                               ;   in Loop: Header=BB0_33 Depth=1
	s_wait_xcnt 0x0
.LBB0_81:                               ;   in Loop: Header=BB0_33 Depth=1
	global_load_b64 v[22:23], v5, s[0:1]
.LBB0_82:                               ;   in Loop: Header=BB0_33 Depth=1
	s_wait_xcnt 0x0
	v_readfirstlane_b32 s0, v32
	v_mov_b64_e32 v[28:29], 0
	s_delay_alu instid0(VALU_DEP_2)
	v_cmp_eq_u32_e64 s0, s0, v32
	s_and_saveexec_b32 s1, s0
	s_cbranch_execz .LBB0_88
; %bb.83:                               ;   in Loop: Header=BB0_33 Depth=1
	global_load_b64 v[26:27], v5, s[2:3] offset:24 scope:SCOPE_SYS
	s_wait_loadcnt 0x0
	global_inv scope:SCOPE_SYS
	s_clause 0x1
	global_load_b64 v[24:25], v5, s[2:3] offset:40
	global_load_b64 v[28:29], v5, s[2:3]
	s_mov_b32 s10, exec_lo
	s_wait_loadcnt 0x1
	v_and_b32_e32 v24, v24, v26
	v_and_b32_e32 v25, v25, v27
	s_delay_alu instid0(VALU_DEP_1) | instskip(SKIP_1) | instid1(VALU_DEP_1)
	v_mul_u64_e32 v[24:25], 24, v[24:25]
	s_wait_loadcnt 0x0
	v_add_nc_u64_e32 v[24:25], v[28:29], v[24:25]
	global_load_b64 v[24:25], v[24:25], off scope:SCOPE_SYS
	s_wait_xcnt 0x0
	s_wait_loadcnt 0x0
	global_atomic_cmpswap_b64 v[28:29], v5, v[24:27], s[2:3] offset:24 th:TH_ATOMIC_RETURN scope:SCOPE_SYS
	s_wait_loadcnt 0x0
	global_inv scope:SCOPE_SYS
	s_wait_xcnt 0x0
	v_cmpx_ne_u64_e64 v[28:29], v[26:27]
	s_cbranch_execz .LBB0_87
; %bb.84:                               ;   in Loop: Header=BB0_33 Depth=1
	s_mov_b32 s11, 0
.LBB0_85:                               ;   Parent Loop BB0_33 Depth=1
                                        ; =>  This Inner Loop Header: Depth=2
	s_sleep 1
	s_clause 0x1
	global_load_b64 v[24:25], v5, s[2:3] offset:40
	global_load_b64 v[30:31], v5, s[2:3]
	v_mov_b64_e32 v[26:27], v[28:29]
	s_wait_loadcnt 0x1
	s_delay_alu instid0(VALU_DEP_1) | instskip(SKIP_1) | instid1(VALU_DEP_1)
	v_and_b32_e32 v1, v24, v26
	s_wait_loadcnt 0x0
	v_mad_nc_u64_u32 v[28:29], v1, 24, v[30:31]
	s_delay_alu instid0(VALU_DEP_3) | instskip(NEXT) | instid1(VALU_DEP_1)
	v_and_b32_e32 v1, v25, v27
	v_mad_u32 v29, v1, 24, v29
	global_load_b64 v[24:25], v[28:29], off scope:SCOPE_SYS
	s_wait_xcnt 0x0
	s_wait_loadcnt 0x0
	global_atomic_cmpswap_b64 v[28:29], v5, v[24:27], s[2:3] offset:24 th:TH_ATOMIC_RETURN scope:SCOPE_SYS
	s_wait_loadcnt 0x0
	global_inv scope:SCOPE_SYS
	v_cmp_eq_u64_e32 vcc_lo, v[28:29], v[26:27]
	s_or_b32 s11, vcc_lo, s11
	s_wait_xcnt 0x0
	s_and_not1_b32 exec_lo, exec_lo, s11
	s_cbranch_execnz .LBB0_85
; %bb.86:                               ;   in Loop: Header=BB0_33 Depth=1
	s_or_b32 exec_lo, exec_lo, s11
.LBB0_87:                               ;   in Loop: Header=BB0_33 Depth=1
	s_delay_alu instid0(SALU_CYCLE_1)
	s_or_b32 exec_lo, exec_lo, s10
.LBB0_88:                               ;   in Loop: Header=BB0_33 Depth=1
	s_delay_alu instid0(SALU_CYCLE_1)
	s_or_b32 exec_lo, exec_lo, s1
	s_clause 0x1
	global_load_b64 v[30:31], v5, s[2:3] offset:40
	global_load_b128 v[24:27], v5, s[2:3]
	v_readfirstlane_b32 s10, v28
	v_readfirstlane_b32 s11, v29
	s_mov_b32 s1, exec_lo
	s_wait_loadcnt 0x1
	v_and_b32_e32 v30, s10, v30
	v_and_b32_e32 v31, s11, v31
	s_delay_alu instid0(VALU_DEP_1) | instskip(SKIP_1) | instid1(VALU_DEP_1)
	v_mul_u64_e32 v[28:29], 24, v[30:31]
	s_wait_loadcnt 0x0
	v_add_nc_u64_e32 v[28:29], v[24:25], v[28:29]
	s_wait_xcnt 0x0
	s_and_saveexec_b32 s12, s0
	s_cbranch_execz .LBB0_90
; %bb.89:                               ;   in Loop: Header=BB0_33 Depth=1
	v_mov_b32_e32 v4, s1
	global_store_b128 v[28:29], v[4:7], off offset:8
.LBB0_90:                               ;   in Loop: Header=BB0_33 Depth=1
	s_wait_xcnt 0x0
	s_or_b32 exec_lo, exec_lo, s12
	v_cmp_gt_u64_e64 s1, s[6:7], 56
	v_lshlrev_b64_e32 v[30:31], 12, v[30:31]
	v_and_b32_e32 v1, 0xffffff1f, v8
	s_and_b32 s1, s1, exec_lo
	s_delay_alu instid0(VALU_DEP_2) | instskip(SKIP_4) | instid1(VALU_DEP_2)
	v_add_nc_u64_e32 v[26:27], v[26:27], v[30:31]
	s_cselect_b32 s1, 0, 2
	s_lshl_b32 s12, s8, 2
	v_or_b32_e32 v1, s1, v1
	s_add_co_i32 s1, s12, 28
	v_readfirstlane_b32 s12, v26
	s_delay_alu instid0(VALU_DEP_3) | instskip(NEXT) | instid1(VALU_DEP_3)
	v_readfirstlane_b32 s13, v27
	v_and_or_b32 v8, 0x1e0, s1, v1
	s_clause 0x3
	global_store_b128 v0, v[8:11], s[12:13]
	global_store_b128 v0, v[12:15], s[12:13] offset:16
	global_store_b128 v0, v[16:19], s[12:13] offset:32
	;; [unrolled: 1-line block ×3, first 2 shown]
	s_wait_xcnt 0x0
	s_and_saveexec_b32 s1, s0
	s_cbranch_execz .LBB0_98
; %bb.91:                               ;   in Loop: Header=BB0_33 Depth=1
	s_clause 0x1
	global_load_b64 v[16:17], v5, s[2:3] offset:32 scope:SCOPE_SYS
	global_load_b64 v[8:9], v5, s[2:3] offset:40
	s_mov_b32 s12, exec_lo
	v_dual_mov_b32 v14, s10 :: v_dual_mov_b32 v15, s11
	s_wait_loadcnt 0x0
	v_and_b32_e32 v9, s11, v9
	v_and_b32_e32 v8, s10, v8
	s_delay_alu instid0(VALU_DEP_1) | instskip(NEXT) | instid1(VALU_DEP_1)
	v_mul_u64_e32 v[8:9], 24, v[8:9]
	v_add_nc_u64_e32 v[12:13], v[24:25], v[8:9]
	global_store_b64 v[12:13], v[16:17], off
	global_wb scope:SCOPE_SYS
	s_wait_storecnt 0x0
	s_wait_xcnt 0x0
	global_atomic_cmpswap_b64 v[10:11], v5, v[14:17], s[2:3] offset:32 th:TH_ATOMIC_RETURN scope:SCOPE_SYS
	s_wait_loadcnt 0x0
	v_cmpx_ne_u64_e64 v[10:11], v[16:17]
	s_cbranch_execz .LBB0_94
; %bb.92:                               ;   in Loop: Header=BB0_33 Depth=1
	s_mov_b32 s13, 0
.LBB0_93:                               ;   Parent Loop BB0_33 Depth=1
                                        ; =>  This Inner Loop Header: Depth=2
	v_dual_mov_b32 v8, s10 :: v_dual_mov_b32 v9, s11
	s_sleep 1
	global_store_b64 v[12:13], v[10:11], off
	global_wb scope:SCOPE_SYS
	s_wait_storecnt 0x0
	s_wait_xcnt 0x0
	global_atomic_cmpswap_b64 v[8:9], v5, v[8:11], s[2:3] offset:32 th:TH_ATOMIC_RETURN scope:SCOPE_SYS
	s_wait_loadcnt 0x0
	v_cmp_eq_u64_e32 vcc_lo, v[8:9], v[10:11]
	v_mov_b64_e32 v[10:11], v[8:9]
	s_or_b32 s13, vcc_lo, s13
	s_delay_alu instid0(SALU_CYCLE_1)
	s_and_not1_b32 exec_lo, exec_lo, s13
	s_cbranch_execnz .LBB0_93
.LBB0_94:                               ;   in Loop: Header=BB0_33 Depth=1
	s_or_b32 exec_lo, exec_lo, s12
	global_load_b64 v[8:9], v5, s[2:3] offset:16
	s_mov_b32 s13, exec_lo
	s_mov_b32 s12, exec_lo
	v_mbcnt_lo_u32_b32 v1, s13, 0
	s_wait_xcnt 0x0
	s_delay_alu instid0(VALU_DEP_1)
	v_cmpx_eq_u32_e32 0, v1
	s_cbranch_execz .LBB0_96
; %bb.95:                               ;   in Loop: Header=BB0_33 Depth=1
	s_bcnt1_i32_b32 s13, s13
	s_delay_alu instid0(SALU_CYCLE_1)
	v_mov_b32_e32 v4, s13
	global_wb scope:SCOPE_SYS
	s_wait_loadcnt 0x0
	s_wait_storecnt 0x0
	global_atomic_add_u64 v[8:9], v[4:5], off offset:8 scope:SCOPE_SYS
.LBB0_96:                               ;   in Loop: Header=BB0_33 Depth=1
	s_wait_xcnt 0x0
	s_or_b32 exec_lo, exec_lo, s12
	s_wait_loadcnt 0x0
	global_load_b64 v[10:11], v[8:9], off offset:16
	s_wait_loadcnt 0x0
	v_cmp_eq_u64_e32 vcc_lo, 0, v[10:11]
	s_cbranch_vccnz .LBB0_98
; %bb.97:                               ;   in Loop: Header=BB0_33 Depth=1
	global_load_b32 v4, v[8:9], off offset:24
	s_wait_loadcnt 0x0
	v_readfirstlane_b32 s12, v4
	global_wb scope:SCOPE_SYS
	s_wait_storecnt 0x0
	s_wait_xcnt 0x0
	global_store_b64 v[10:11], v[4:5], off scope:SCOPE_SYS
	s_and_b32 m0, s12, 0xffffff
	s_sendmsg sendmsg(MSG_INTERRUPT)
.LBB0_98:                               ;   in Loop: Header=BB0_33 Depth=1
	s_wait_xcnt 0x0
	s_or_b32 exec_lo, exec_lo, s1
	v_mov_b32_e32 v1, v5
	s_delay_alu instid0(VALU_DEP_1)
	v_add_nc_u64_e32 v[8:9], v[26:27], v[0:1]
	s_branch .LBB0_102
.LBB0_99:                               ;   in Loop: Header=BB0_102 Depth=2
	s_wait_xcnt 0x0
	s_or_b32 exec_lo, exec_lo, s1
	s_delay_alu instid0(VALU_DEP_1)
	v_readfirstlane_b32 s1, v1
	s_cmp_eq_u32 s1, 0
	s_cbranch_scc1 .LBB0_101
; %bb.100:                              ;   in Loop: Header=BB0_102 Depth=2
	s_sleep 1
	s_cbranch_execnz .LBB0_102
	s_branch .LBB0_104
.LBB0_101:                              ;   in Loop: Header=BB0_33 Depth=1
	s_branch .LBB0_104
.LBB0_102:                              ;   Parent Loop BB0_33 Depth=1
                                        ; =>  This Inner Loop Header: Depth=2
	v_mov_b32_e32 v1, 1
	s_and_saveexec_b32 s1, s0
	s_cbranch_execz .LBB0_99
; %bb.103:                              ;   in Loop: Header=BB0_102 Depth=2
	global_load_b32 v1, v[28:29], off offset:20 scope:SCOPE_SYS
	s_wait_loadcnt 0x0
	global_inv scope:SCOPE_SYS
	v_and_b32_e32 v1, 1, v1
	s_branch .LBB0_99
.LBB0_104:                              ;   in Loop: Header=BB0_33 Depth=1
	global_load_b128 v[8:11], v[8:9], off
	s_wait_xcnt 0x0
	s_and_saveexec_b32 s12, s0
	s_cbranch_execz .LBB0_32
; %bb.105:                              ;   in Loop: Header=BB0_33 Depth=1
	s_wait_loadcnt 0x0
	s_clause 0x2
	global_load_b64 v[10:11], v5, s[2:3] offset:40
	global_load_b64 v[18:19], v5, s[2:3] offset:24 scope:SCOPE_SYS
	global_load_b64 v[12:13], v5, s[2:3]
	s_wait_loadcnt 0x2
	v_readfirstlane_b32 s14, v10
	v_readfirstlane_b32 s15, v11
	s_add_nc_u64 s[0:1], s[14:15], 1
	s_delay_alu instid0(SALU_CYCLE_1) | instskip(NEXT) | instid1(SALU_CYCLE_1)
	s_add_nc_u64 s[10:11], s[0:1], s[10:11]
	s_cmp_eq_u64 s[10:11], 0
	s_cselect_b32 s1, s1, s11
	s_cselect_b32 s0, s0, s10
	s_delay_alu instid0(SALU_CYCLE_1) | instskip(SKIP_1) | instid1(SALU_CYCLE_1)
	v_dual_mov_b32 v17, s1 :: v_dual_mov_b32 v16, s0
	s_and_b64 s[10:11], s[0:1], s[14:15]
	s_mul_u64 s[10:11], s[10:11], 24
	s_wait_loadcnt 0x0
	v_add_nc_u64_e32 v[14:15], s[10:11], v[12:13]
	global_store_b64 v[14:15], v[18:19], off
	global_wb scope:SCOPE_SYS
	s_wait_storecnt 0x0
	s_wait_xcnt 0x0
	global_atomic_cmpswap_b64 v[12:13], v5, v[16:19], s[2:3] offset:24 th:TH_ATOMIC_RETURN scope:SCOPE_SYS
	s_wait_loadcnt 0x0
	v_cmp_ne_u64_e32 vcc_lo, v[12:13], v[18:19]
	s_and_b32 exec_lo, exec_lo, vcc_lo
	s_cbranch_execz .LBB0_32
; %bb.106:                              ;   in Loop: Header=BB0_33 Depth=1
	s_mov_b32 s10, 0
.LBB0_107:                              ;   Parent Loop BB0_33 Depth=1
                                        ; =>  This Inner Loop Header: Depth=2
	v_dual_mov_b32 v10, s0 :: v_dual_mov_b32 v11, s1
	s_sleep 1
	global_store_b64 v[14:15], v[12:13], off
	global_wb scope:SCOPE_SYS
	s_wait_storecnt 0x0
	s_wait_xcnt 0x0
	global_atomic_cmpswap_b64 v[10:11], v5, v[10:13], s[2:3] offset:24 th:TH_ATOMIC_RETURN scope:SCOPE_SYS
	s_wait_loadcnt 0x0
	v_cmp_eq_u64_e32 vcc_lo, v[10:11], v[12:13]
	v_mov_b64_e32 v[12:13], v[10:11]
	s_or_b32 s10, vcc_lo, s10
	s_delay_alu instid0(SALU_CYCLE_1)
	s_and_not1_b32 exec_lo, exec_lo, s10
	s_cbranch_execnz .LBB0_107
	s_branch .LBB0_32
.LBB0_108:
	s_branch .LBB0_136
.LBB0_109:
	s_cbranch_execz .LBB0_136
; %bb.110:
	v_readfirstlane_b32 s0, v32
	s_wait_loadcnt 0x0
	v_mov_b64_e32 v[10:11], 0
	s_delay_alu instid0(VALU_DEP_2)
	v_cmp_eq_u32_e64 s0, s0, v32
	s_and_saveexec_b32 s1, s0
	s_cbranch_execz .LBB0_116
; %bb.111:
	v_mov_b32_e32 v1, 0
	s_mov_b32 s4, exec_lo
	global_load_b64 v[6:7], v1, s[2:3] offset:24 scope:SCOPE_SYS
	s_wait_loadcnt 0x0
	global_inv scope:SCOPE_SYS
	s_clause 0x1
	global_load_b64 v[4:5], v1, s[2:3] offset:40
	global_load_b64 v[8:9], v1, s[2:3]
	s_wait_loadcnt 0x1
	v_and_b32_e32 v4, v4, v6
	v_and_b32_e32 v5, v5, v7
	s_delay_alu instid0(VALU_DEP_1) | instskip(SKIP_1) | instid1(VALU_DEP_1)
	v_mul_u64_e32 v[4:5], 24, v[4:5]
	s_wait_loadcnt 0x0
	v_add_nc_u64_e32 v[4:5], v[8:9], v[4:5]
	global_load_b64 v[4:5], v[4:5], off scope:SCOPE_SYS
	s_wait_xcnt 0x0
	s_wait_loadcnt 0x0
	global_atomic_cmpswap_b64 v[10:11], v1, v[4:7], s[2:3] offset:24 th:TH_ATOMIC_RETURN scope:SCOPE_SYS
	s_wait_loadcnt 0x0
	global_inv scope:SCOPE_SYS
	s_wait_xcnt 0x0
	v_cmpx_ne_u64_e64 v[10:11], v[6:7]
	s_cbranch_execz .LBB0_115
; %bb.112:
	s_mov_b32 s5, 0
.LBB0_113:                              ; =>This Inner Loop Header: Depth=1
	s_sleep 1
	s_clause 0x1
	global_load_b64 v[4:5], v1, s[2:3] offset:40
	global_load_b64 v[8:9], v1, s[2:3]
	v_mov_b64_e32 v[6:7], v[10:11]
	s_wait_loadcnt 0x1
	s_delay_alu instid0(VALU_DEP_1) | instskip(SKIP_1) | instid1(VALU_DEP_1)
	v_and_b32_e32 v4, v4, v6
	s_wait_loadcnt 0x0
	v_mad_nc_u64_u32 v[8:9], v4, 24, v[8:9]
	s_delay_alu instid0(VALU_DEP_3) | instskip(NEXT) | instid1(VALU_DEP_1)
	v_and_b32_e32 v4, v5, v7
	v_mad_u32 v9, v4, 24, v9
	global_load_b64 v[4:5], v[8:9], off scope:SCOPE_SYS
	s_wait_xcnt 0x0
	s_wait_loadcnt 0x0
	global_atomic_cmpswap_b64 v[10:11], v1, v[4:7], s[2:3] offset:24 th:TH_ATOMIC_RETURN scope:SCOPE_SYS
	s_wait_loadcnt 0x0
	global_inv scope:SCOPE_SYS
	v_cmp_eq_u64_e32 vcc_lo, v[10:11], v[6:7]
	s_or_b32 s5, vcc_lo, s5
	s_wait_xcnt 0x0
	s_and_not1_b32 exec_lo, exec_lo, s5
	s_cbranch_execnz .LBB0_113
; %bb.114:
	s_or_b32 exec_lo, exec_lo, s5
.LBB0_115:
	s_delay_alu instid0(SALU_CYCLE_1)
	s_or_b32 exec_lo, exec_lo, s4
.LBB0_116:
	s_delay_alu instid0(SALU_CYCLE_1)
	s_or_b32 exec_lo, exec_lo, s1
	v_readfirstlane_b32 s4, v10
	v_mov_b32_e32 v4, 0
	v_readfirstlane_b32 s5, v11
	s_mov_b32 s1, exec_lo
	s_clause 0x1
	global_load_b64 v[12:13], v4, s[2:3] offset:40
	global_load_b128 v[6:9], v4, s[2:3]
	s_wait_loadcnt 0x1
	v_and_b32_e32 v12, s4, v12
	v_and_b32_e32 v13, s5, v13
	s_delay_alu instid0(VALU_DEP_1) | instskip(SKIP_1) | instid1(VALU_DEP_1)
	v_mul_u64_e32 v[10:11], 24, v[12:13]
	s_wait_loadcnt 0x0
	v_add_nc_u64_e32 v[10:11], v[6:7], v[10:11]
	s_wait_xcnt 0x0
	s_and_saveexec_b32 s6, s0
	s_cbranch_execz .LBB0_118
; %bb.117:
	v_mov_b64_e32 v[16:17], 0x100000002
	v_dual_mov_b32 v14, s1 :: v_dual_mov_b32 v15, v4
	global_store_b128 v[10:11], v[14:17], off offset:8
.LBB0_118:
	s_wait_xcnt 0x0
	s_or_b32 exec_lo, exec_lo, s6
	v_lshlrev_b64_e32 v[12:13], 12, v[12:13]
	s_mov_b32 s8, 0
	v_and_or_b32 v2, 0xffffff1d, v2, 34
	s_mov_b32 s10, s8
	s_mov_b32 s11, s8
	;; [unrolled: 1-line block ×3, first 2 shown]
	v_mov_b32_e32 v5, v4
	v_add_nc_u64_e32 v[8:9], v[8:9], v[12:13]
	v_mov_b64_e32 v[14:15], s[10:11]
	v_mov_b64_e32 v[12:13], s[8:9]
	s_delay_alu instid0(VALU_DEP_3) | instskip(NEXT) | instid1(VALU_DEP_4)
	v_readfirstlane_b32 s6, v8
	v_readfirstlane_b32 s7, v9
	s_clause 0x3
	global_store_b128 v0, v[2:5], s[6:7]
	global_store_b128 v0, v[12:15], s[6:7] offset:16
	global_store_b128 v0, v[12:15], s[6:7] offset:32
	;; [unrolled: 1-line block ×3, first 2 shown]
	s_wait_xcnt 0x0
	s_and_saveexec_b32 s1, s0
	s_cbranch_execz .LBB0_126
; %bb.119:
	v_dual_mov_b32 v8, 0 :: v_dual_mov_b32 v13, s5
	s_mov_b32 s6, exec_lo
	s_clause 0x1
	global_load_b64 v[14:15], v8, s[2:3] offset:32 scope:SCOPE_SYS
	global_load_b64 v[0:1], v8, s[2:3] offset:40
	s_wait_loadcnt 0x0
	v_dual_mov_b32 v12, s4 :: v_dual_bitop2_b32 v1, s5, v1 bitop3:0x40
	v_and_b32_e32 v0, s4, v0
	s_delay_alu instid0(VALU_DEP_1) | instskip(NEXT) | instid1(VALU_DEP_1)
	v_mul_u64_e32 v[0:1], 24, v[0:1]
	v_add_nc_u64_e32 v[4:5], v[6:7], v[0:1]
	global_store_b64 v[4:5], v[14:15], off
	global_wb scope:SCOPE_SYS
	s_wait_storecnt 0x0
	s_wait_xcnt 0x0
	global_atomic_cmpswap_b64 v[2:3], v8, v[12:15], s[2:3] offset:32 th:TH_ATOMIC_RETURN scope:SCOPE_SYS
	s_wait_loadcnt 0x0
	v_cmpx_ne_u64_e64 v[2:3], v[14:15]
	s_cbranch_execz .LBB0_122
; %bb.120:
	s_mov_b32 s7, 0
.LBB0_121:                              ; =>This Inner Loop Header: Depth=1
	v_dual_mov_b32 v0, s4 :: v_dual_mov_b32 v1, s5
	s_sleep 1
	global_store_b64 v[4:5], v[2:3], off
	global_wb scope:SCOPE_SYS
	s_wait_storecnt 0x0
	s_wait_xcnt 0x0
	global_atomic_cmpswap_b64 v[0:1], v8, v[0:3], s[2:3] offset:32 th:TH_ATOMIC_RETURN scope:SCOPE_SYS
	s_wait_loadcnt 0x0
	v_cmp_eq_u64_e32 vcc_lo, v[0:1], v[2:3]
	v_mov_b64_e32 v[2:3], v[0:1]
	s_or_b32 s7, vcc_lo, s7
	s_delay_alu instid0(SALU_CYCLE_1)
	s_and_not1_b32 exec_lo, exec_lo, s7
	s_cbranch_execnz .LBB0_121
.LBB0_122:
	s_or_b32 exec_lo, exec_lo, s6
	v_mov_b32_e32 v3, 0
	s_mov_b32 s7, exec_lo
	s_mov_b32 s6, exec_lo
	v_mbcnt_lo_u32_b32 v2, s7, 0
	global_load_b64 v[0:1], v3, s[2:3] offset:16
	s_wait_xcnt 0x0
	v_cmpx_eq_u32_e32 0, v2
	s_cbranch_execz .LBB0_124
; %bb.123:
	s_bcnt1_i32_b32 s7, s7
	s_delay_alu instid0(SALU_CYCLE_1)
	v_mov_b32_e32 v2, s7
	global_wb scope:SCOPE_SYS
	s_wait_loadcnt 0x0
	s_wait_storecnt 0x0
	global_atomic_add_u64 v[0:1], v[2:3], off offset:8 scope:SCOPE_SYS
.LBB0_124:
	s_wait_xcnt 0x0
	s_or_b32 exec_lo, exec_lo, s6
	s_wait_loadcnt 0x0
	global_load_b64 v[2:3], v[0:1], off offset:16
	s_wait_loadcnt 0x0
	v_cmp_eq_u64_e32 vcc_lo, 0, v[2:3]
	s_cbranch_vccnz .LBB0_126
; %bb.125:
	global_load_b32 v0, v[0:1], off offset:24
	s_wait_xcnt 0x0
	v_mov_b32_e32 v1, 0
	s_wait_loadcnt 0x0
	v_readfirstlane_b32 s6, v0
	global_wb scope:SCOPE_SYS
	s_wait_storecnt 0x0
	global_store_b64 v[2:3], v[0:1], off scope:SCOPE_SYS
	s_and_b32 m0, s6, 0xffffff
	s_sendmsg sendmsg(MSG_INTERRUPT)
.LBB0_126:
	s_wait_xcnt 0x0
	s_or_b32 exec_lo, exec_lo, s1
	s_branch .LBB0_130
.LBB0_127:                              ;   in Loop: Header=BB0_130 Depth=1
	s_wait_xcnt 0x0
	s_or_b32 exec_lo, exec_lo, s1
	s_delay_alu instid0(VALU_DEP_1)
	v_readfirstlane_b32 s1, v0
	s_cmp_eq_u32 s1, 0
	s_cbranch_scc1 .LBB0_129
; %bb.128:                              ;   in Loop: Header=BB0_130 Depth=1
	s_sleep 1
	s_cbranch_execnz .LBB0_130
	s_branch .LBB0_132
.LBB0_129:
	s_branch .LBB0_132
.LBB0_130:                              ; =>This Inner Loop Header: Depth=1
	v_mov_b32_e32 v0, 1
	s_and_saveexec_b32 s1, s0
	s_cbranch_execz .LBB0_127
; %bb.131:                              ;   in Loop: Header=BB0_130 Depth=1
	global_load_b32 v0, v[10:11], off offset:20 scope:SCOPE_SYS
	s_wait_loadcnt 0x0
	global_inv scope:SCOPE_SYS
	v_and_b32_e32 v0, 1, v0
	s_branch .LBB0_127
.LBB0_132:
	s_and_saveexec_b32 s1, s0
	s_cbranch_execz .LBB0_136
; %bb.133:
	v_mov_b32_e32 v6, 0
	s_clause 0x2
	global_load_b64 v[0:1], v6, s[2:3] offset:40
	global_load_b64 v[10:11], v6, s[2:3] offset:24 scope:SCOPE_SYS
	global_load_b64 v[2:3], v6, s[2:3]
	s_wait_loadcnt 0x2
	v_readfirstlane_b32 s6, v0
	v_readfirstlane_b32 s7, v1
	s_add_nc_u64 s[0:1], s[6:7], 1
	s_delay_alu instid0(SALU_CYCLE_1) | instskip(NEXT) | instid1(SALU_CYCLE_1)
	s_add_nc_u64 s[4:5], s[0:1], s[4:5]
	s_cmp_eq_u64 s[4:5], 0
	s_cselect_b32 s1, s1, s5
	s_cselect_b32 s0, s0, s4
	v_mov_b32_e32 v9, s1
	s_and_b64 s[4:5], s[0:1], s[6:7]
	v_mov_b32_e32 v8, s0
	s_mul_u64 s[4:5], s[4:5], 24
	s_wait_loadcnt 0x0
	v_add_nc_u64_e32 v[4:5], s[4:5], v[2:3]
	global_store_b64 v[4:5], v[10:11], off
	global_wb scope:SCOPE_SYS
	s_wait_storecnt 0x0
	s_wait_xcnt 0x0
	global_atomic_cmpswap_b64 v[2:3], v6, v[8:11], s[2:3] offset:24 th:TH_ATOMIC_RETURN scope:SCOPE_SYS
	s_wait_loadcnt 0x0
	v_cmp_ne_u64_e32 vcc_lo, v[2:3], v[10:11]
	s_and_b32 exec_lo, exec_lo, vcc_lo
	s_cbranch_execz .LBB0_136
; %bb.134:
	s_mov_b32 s4, 0
.LBB0_135:                              ; =>This Inner Loop Header: Depth=1
	v_dual_mov_b32 v0, s0 :: v_dual_mov_b32 v1, s1
	s_sleep 1
	global_store_b64 v[4:5], v[2:3], off
	global_wb scope:SCOPE_SYS
	s_wait_storecnt 0x0
	s_wait_xcnt 0x0
	global_atomic_cmpswap_b64 v[0:1], v6, v[0:3], s[2:3] offset:24 th:TH_ATOMIC_RETURN scope:SCOPE_SYS
	s_wait_loadcnt 0x0
	v_cmp_eq_u64_e32 vcc_lo, v[0:1], v[2:3]
	v_mov_b64_e32 v[2:3], v[0:1]
	s_or_b32 s4, vcc_lo, s4
	s_delay_alu instid0(SALU_CYCLE_1)
	s_and_not1_b32 exec_lo, exec_lo, s4
	s_cbranch_execnz .LBB0_135
.LBB0_136:
	s_endpgm
	.section	.rodata,"a",@progbits
	.p2align	6, 0x0
	.amdhsa_kernel _ZN2at6native30tinygemm_m16n8k16_chunk_kernelINS0_10ALayout_RMILNS0_14KReductionTypeE0EEENS0_15BLayout_TC_int4ILi2ELi32EEES4_Li8ELi8EEEvPKvS8_S8_Pviiiiii
		.amdhsa_group_segment_fixed_size 0
		.amdhsa_private_segment_fixed_size 0
		.amdhsa_kernarg_size 312
		.amdhsa_user_sgpr_count 2
		.amdhsa_user_sgpr_dispatch_ptr 0
		.amdhsa_user_sgpr_queue_ptr 0
		.amdhsa_user_sgpr_kernarg_segment_ptr 1
		.amdhsa_user_sgpr_dispatch_id 0
		.amdhsa_user_sgpr_kernarg_preload_length 0
		.amdhsa_user_sgpr_kernarg_preload_offset 0
		.amdhsa_user_sgpr_private_segment_size 0
		.amdhsa_wavefront_size32 1
		.amdhsa_uses_dynamic_stack 0
		.amdhsa_enable_private_segment 0
		.amdhsa_system_sgpr_workgroup_id_x 1
		.amdhsa_system_sgpr_workgroup_id_y 0
		.amdhsa_system_sgpr_workgroup_id_z 0
		.amdhsa_system_sgpr_workgroup_info 0
		.amdhsa_system_vgpr_workitem_id 0
		.amdhsa_next_free_vgpr 33
		.amdhsa_next_free_sgpr 18
		.amdhsa_named_barrier_count 0
		.amdhsa_reserve_vcc 1
		.amdhsa_float_round_mode_32 0
		.amdhsa_float_round_mode_16_64 0
		.amdhsa_float_denorm_mode_32 3
		.amdhsa_float_denorm_mode_16_64 3
		.amdhsa_fp16_overflow 0
		.amdhsa_memory_ordered 1
		.amdhsa_forward_progress 1
		.amdhsa_inst_pref_size 43
		.amdhsa_round_robin_scheduling 0
		.amdhsa_exception_fp_ieee_invalid_op 0
		.amdhsa_exception_fp_denorm_src 0
		.amdhsa_exception_fp_ieee_div_zero 0
		.amdhsa_exception_fp_ieee_overflow 0
		.amdhsa_exception_fp_ieee_underflow 0
		.amdhsa_exception_fp_ieee_inexact 0
		.amdhsa_exception_int_div_zero 0
	.end_amdhsa_kernel
	.section	.text._ZN2at6native30tinygemm_m16n8k16_chunk_kernelINS0_10ALayout_RMILNS0_14KReductionTypeE0EEENS0_15BLayout_TC_int4ILi2ELi32EEES4_Li8ELi8EEEvPKvS8_S8_Pviiiiii,"axG",@progbits,_ZN2at6native30tinygemm_m16n8k16_chunk_kernelINS0_10ALayout_RMILNS0_14KReductionTypeE0EEENS0_15BLayout_TC_int4ILi2ELi32EEES4_Li8ELi8EEEvPKvS8_S8_Pviiiiii,comdat
.Lfunc_end0:
	.size	_ZN2at6native30tinygemm_m16n8k16_chunk_kernelINS0_10ALayout_RMILNS0_14KReductionTypeE0EEENS0_15BLayout_TC_int4ILi2ELi32EEES4_Li8ELi8EEEvPKvS8_S8_Pviiiiii, .Lfunc_end0-_ZN2at6native30tinygemm_m16n8k16_chunk_kernelINS0_10ALayout_RMILNS0_14KReductionTypeE0EEENS0_15BLayout_TC_int4ILi2ELi32EEES4_Li8ELi8EEEvPKvS8_S8_Pviiiiii
                                        ; -- End function
	.set _ZN2at6native30tinygemm_m16n8k16_chunk_kernelINS0_10ALayout_RMILNS0_14KReductionTypeE0EEENS0_15BLayout_TC_int4ILi2ELi32EEES4_Li8ELi8EEEvPKvS8_S8_Pviiiiii.num_vgpr, 33
	.set _ZN2at6native30tinygemm_m16n8k16_chunk_kernelINS0_10ALayout_RMILNS0_14KReductionTypeE0EEENS0_15BLayout_TC_int4ILi2ELi32EEES4_Li8ELi8EEEvPKvS8_S8_Pviiiiii.num_agpr, 0
	.set _ZN2at6native30tinygemm_m16n8k16_chunk_kernelINS0_10ALayout_RMILNS0_14KReductionTypeE0EEENS0_15BLayout_TC_int4ILi2ELi32EEES4_Li8ELi8EEEvPKvS8_S8_Pviiiiii.numbered_sgpr, 18
	.set _ZN2at6native30tinygemm_m16n8k16_chunk_kernelINS0_10ALayout_RMILNS0_14KReductionTypeE0EEENS0_15BLayout_TC_int4ILi2ELi32EEES4_Li8ELi8EEEvPKvS8_S8_Pviiiiii.num_named_barrier, 0
	.set _ZN2at6native30tinygemm_m16n8k16_chunk_kernelINS0_10ALayout_RMILNS0_14KReductionTypeE0EEENS0_15BLayout_TC_int4ILi2ELi32EEES4_Li8ELi8EEEvPKvS8_S8_Pviiiiii.private_seg_size, 0
	.set _ZN2at6native30tinygemm_m16n8k16_chunk_kernelINS0_10ALayout_RMILNS0_14KReductionTypeE0EEENS0_15BLayout_TC_int4ILi2ELi32EEES4_Li8ELi8EEEvPKvS8_S8_Pviiiiii.uses_vcc, 1
	.set _ZN2at6native30tinygemm_m16n8k16_chunk_kernelINS0_10ALayout_RMILNS0_14KReductionTypeE0EEENS0_15BLayout_TC_int4ILi2ELi32EEES4_Li8ELi8EEEvPKvS8_S8_Pviiiiii.uses_flat_scratch, 0
	.set _ZN2at6native30tinygemm_m16n8k16_chunk_kernelINS0_10ALayout_RMILNS0_14KReductionTypeE0EEENS0_15BLayout_TC_int4ILi2ELi32EEES4_Li8ELi8EEEvPKvS8_S8_Pviiiiii.has_dyn_sized_stack, 0
	.set _ZN2at6native30tinygemm_m16n8k16_chunk_kernelINS0_10ALayout_RMILNS0_14KReductionTypeE0EEENS0_15BLayout_TC_int4ILi2ELi32EEES4_Li8ELi8EEEvPKvS8_S8_Pviiiiii.has_recursion, 0
	.set _ZN2at6native30tinygemm_m16n8k16_chunk_kernelINS0_10ALayout_RMILNS0_14KReductionTypeE0EEENS0_15BLayout_TC_int4ILi2ELi32EEES4_Li8ELi8EEEvPKvS8_S8_Pviiiiii.has_indirect_call, 0
	.section	.AMDGPU.csdata,"",@progbits
; Kernel info:
; codeLenInByte = 5440
; TotalNumSgprs: 20
; NumVgprs: 33
; ScratchSize: 0
; MemoryBound: 0
; FloatMode: 240
; IeeeMode: 1
; LDSByteSize: 0 bytes/workgroup (compile time only)
; SGPRBlocks: 0
; VGPRBlocks: 2
; NumSGPRsForWavesPerEU: 20
; NumVGPRsForWavesPerEU: 33
; NamedBarCnt: 0
; Occupancy: 16
; WaveLimiterHint : 1
; COMPUTE_PGM_RSRC2:SCRATCH_EN: 0
; COMPUTE_PGM_RSRC2:USER_SGPR: 2
; COMPUTE_PGM_RSRC2:TRAP_HANDLER: 0
; COMPUTE_PGM_RSRC2:TGID_X_EN: 1
; COMPUTE_PGM_RSRC2:TGID_Y_EN: 0
; COMPUTE_PGM_RSRC2:TGID_Z_EN: 0
; COMPUTE_PGM_RSRC2:TIDIG_COMP_CNT: 0
	.section	.text._ZN2at6native30tinygemm_m16n8k16_chunk_kernelINS0_10ALayout_RMILNS0_14KReductionTypeE0EEENS0_15BLayout_TC_int4ILi4ELi32EEES4_Li8ELi8EEEvPKvS8_S8_Pviiiiii,"axG",@progbits,_ZN2at6native30tinygemm_m16n8k16_chunk_kernelINS0_10ALayout_RMILNS0_14KReductionTypeE0EEENS0_15BLayout_TC_int4ILi4ELi32EEES4_Li8ELi8EEEvPKvS8_S8_Pviiiiii,comdat
	.protected	_ZN2at6native30tinygemm_m16n8k16_chunk_kernelINS0_10ALayout_RMILNS0_14KReductionTypeE0EEENS0_15BLayout_TC_int4ILi4ELi32EEES4_Li8ELi8EEEvPKvS8_S8_Pviiiiii ; -- Begin function _ZN2at6native30tinygemm_m16n8k16_chunk_kernelINS0_10ALayout_RMILNS0_14KReductionTypeE0EEENS0_15BLayout_TC_int4ILi4ELi32EEES4_Li8ELi8EEEvPKvS8_S8_Pviiiiii
	.globl	_ZN2at6native30tinygemm_m16n8k16_chunk_kernelINS0_10ALayout_RMILNS0_14KReductionTypeE0EEENS0_15BLayout_TC_int4ILi4ELi32EEES4_Li8ELi8EEEvPKvS8_S8_Pviiiiii
	.p2align	8
	.type	_ZN2at6native30tinygemm_m16n8k16_chunk_kernelINS0_10ALayout_RMILNS0_14KReductionTypeE0EEENS0_15BLayout_TC_int4ILi4ELi32EEES4_Li8ELi8EEEvPKvS8_S8_Pviiiiii,@function
_ZN2at6native30tinygemm_m16n8k16_chunk_kernelINS0_10ALayout_RMILNS0_14KReductionTypeE0EEENS0_15BLayout_TC_int4ILi4ELi32EEES4_Li8ELi8EEEvPKvS8_S8_Pviiiiii: ; @_ZN2at6native30tinygemm_m16n8k16_chunk_kernelINS0_10ALayout_RMILNS0_14KReductionTypeE0EEENS0_15BLayout_TC_int4ILi4ELi32EEES4_Li8ELi8EEEvPKvS8_S8_Pviiiiii
; %bb.0:
	s_load_b64 s[2:3], s[0:1], 0x88
	v_mbcnt_lo_u32_b32 v32, -1, 0
	v_mov_b64_e32 v[2:3], 0
	s_wait_xcnt 0x0
	s_delay_alu instid0(VALU_DEP_2) | instskip(NEXT) | instid1(VALU_DEP_1)
	v_readfirstlane_b32 s0, v32
	v_cmp_eq_u32_e64 s0, s0, v32
	s_and_saveexec_b32 s1, s0
	s_cbranch_execz .LBB1_6
; %bb.1:
	v_mov_b32_e32 v0, 0
	s_mov_b32 s4, exec_lo
	s_wait_kmcnt 0x0
	global_load_b64 v[4:5], v0, s[2:3] offset:24 scope:SCOPE_SYS
	s_wait_loadcnt 0x0
	global_inv scope:SCOPE_SYS
	s_clause 0x1
	global_load_b64 v[2:3], v0, s[2:3] offset:40
	global_load_b64 v[6:7], v0, s[2:3]
	s_wait_loadcnt 0x1
	v_and_b32_e32 v2, v2, v4
	v_and_b32_e32 v3, v3, v5
	s_delay_alu instid0(VALU_DEP_1) | instskip(SKIP_1) | instid1(VALU_DEP_1)
	v_mul_u64_e32 v[2:3], 24, v[2:3]
	s_wait_loadcnt 0x0
	v_add_nc_u64_e32 v[2:3], v[6:7], v[2:3]
	global_load_b64 v[2:3], v[2:3], off scope:SCOPE_SYS
	s_wait_xcnt 0x0
	s_wait_loadcnt 0x0
	global_atomic_cmpswap_b64 v[2:3], v0, v[2:5], s[2:3] offset:24 th:TH_ATOMIC_RETURN scope:SCOPE_SYS
	s_wait_loadcnt 0x0
	global_inv scope:SCOPE_SYS
	s_wait_xcnt 0x0
	v_cmpx_ne_u64_e64 v[2:3], v[4:5]
	s_cbranch_execz .LBB1_5
; %bb.2:
	s_mov_b32 s5, 0
.LBB1_3:                                ; =>This Inner Loop Header: Depth=1
	s_sleep 1
	s_clause 0x1
	global_load_b64 v[6:7], v0, s[2:3] offset:40
	global_load_b64 v[8:9], v0, s[2:3]
	v_mov_b64_e32 v[4:5], v[2:3]
	s_wait_loadcnt 0x1
	s_delay_alu instid0(VALU_DEP_1) | instskip(SKIP_1) | instid1(VALU_DEP_1)
	v_and_b32_e32 v1, v6, v4
	s_wait_loadcnt 0x0
	v_mad_nc_u64_u32 v[2:3], v1, 24, v[8:9]
	s_delay_alu instid0(VALU_DEP_3) | instskip(NEXT) | instid1(VALU_DEP_1)
	v_and_b32_e32 v1, v7, v5
	v_mad_u32 v3, v1, 24, v3
	global_load_b64 v[2:3], v[2:3], off scope:SCOPE_SYS
	s_wait_xcnt 0x0
	s_wait_loadcnt 0x0
	global_atomic_cmpswap_b64 v[2:3], v0, v[2:5], s[2:3] offset:24 th:TH_ATOMIC_RETURN scope:SCOPE_SYS
	s_wait_loadcnt 0x0
	global_inv scope:SCOPE_SYS
	v_cmp_eq_u64_e32 vcc_lo, v[2:3], v[4:5]
	s_or_b32 s5, vcc_lo, s5
	s_wait_xcnt 0x0
	s_and_not1_b32 exec_lo, exec_lo, s5
	s_cbranch_execnz .LBB1_3
; %bb.4:
	s_or_b32 exec_lo, exec_lo, s5
.LBB1_5:
	s_delay_alu instid0(SALU_CYCLE_1)
	s_or_b32 exec_lo, exec_lo, s4
.LBB1_6:
	s_delay_alu instid0(SALU_CYCLE_1)
	s_or_b32 exec_lo, exec_lo, s1
	v_readfirstlane_b32 s4, v2
	v_mov_b32_e32 v1, 0
	v_readfirstlane_b32 s5, v3
	s_mov_b32 s1, exec_lo
	s_wait_kmcnt 0x0
	s_clause 0x1
	global_load_b64 v[8:9], v1, s[2:3] offset:40
	global_load_b128 v[4:7], v1, s[2:3]
	s_wait_loadcnt 0x1
	v_and_b32_e32 v10, s4, v8
	v_and_b32_e32 v11, s5, v9
	s_delay_alu instid0(VALU_DEP_1) | instskip(SKIP_1) | instid1(VALU_DEP_1)
	v_mul_u64_e32 v[2:3], 24, v[10:11]
	s_wait_loadcnt 0x0
	v_add_nc_u64_e32 v[8:9], v[4:5], v[2:3]
	s_and_saveexec_b32 s6, s0
	s_cbranch_execz .LBB1_8
; %bb.7:
	v_mov_b64_e32 v[2:3], 0x100000002
	v_mov_b32_e32 v0, s1
	global_store_b128 v[8:9], v[0:3], off offset:8
.LBB1_8:
	s_wait_xcnt 0x0
	s_or_b32 exec_lo, exec_lo, s6
	v_lshlrev_b64_e32 v[2:3], 12, v[10:11]
	s_mov_b32 s8, 0
	v_dual_lshlrev_b32 v0, 6, v32 :: v_dual_mov_b32 v10, 33
	s_mov_b32 s10, s8
	s_mov_b32 s11, s8
	;; [unrolled: 1-line block ×3, first 2 shown]
	s_delay_alu instid0(VALU_DEP_2)
	v_add_nc_u64_e32 v[6:7], v[6:7], v[2:3]
	v_mov_b64_e32 v[16:17], s[10:11]
	v_mov_b64_e32 v[14:15], s[8:9]
	v_dual_mov_b32 v11, v1 :: v_dual_mov_b32 v12, v1
	v_mov_b32_e32 v13, v1
	v_readfirstlane_b32 s6, v6
	v_readfirstlane_b32 s7, v7
	s_clause 0x3
	global_store_b128 v0, v[10:13], s[6:7]
	global_store_b128 v0, v[14:17], s[6:7] offset:16
	global_store_b128 v0, v[14:17], s[6:7] offset:32
	;; [unrolled: 1-line block ×3, first 2 shown]
	s_wait_xcnt 0x0
	s_and_saveexec_b32 s1, s0
	s_cbranch_execz .LBB1_16
; %bb.9:
	v_dual_mov_b32 v12, 0 :: v_dual_mov_b32 v15, s5
	s_mov_b32 s6, exec_lo
	s_clause 0x1
	global_load_b64 v[16:17], v12, s[2:3] offset:32 scope:SCOPE_SYS
	global_load_b64 v[2:3], v12, s[2:3] offset:40
	s_wait_loadcnt 0x0
	v_dual_mov_b32 v14, s4 :: v_dual_bitop2_b32 v3, s5, v3 bitop3:0x40
	v_and_b32_e32 v2, s4, v2
	s_delay_alu instid0(VALU_DEP_1) | instskip(NEXT) | instid1(VALU_DEP_1)
	v_mul_u64_e32 v[2:3], 24, v[2:3]
	v_add_nc_u64_e32 v[10:11], v[4:5], v[2:3]
	global_store_b64 v[10:11], v[16:17], off
	global_wb scope:SCOPE_SYS
	s_wait_storecnt 0x0
	s_wait_xcnt 0x0
	global_atomic_cmpswap_b64 v[4:5], v12, v[14:17], s[2:3] offset:32 th:TH_ATOMIC_RETURN scope:SCOPE_SYS
	s_wait_loadcnt 0x0
	v_cmpx_ne_u64_e64 v[4:5], v[16:17]
	s_cbranch_execz .LBB1_12
; %bb.10:
	s_mov_b32 s7, 0
.LBB1_11:                               ; =>This Inner Loop Header: Depth=1
	v_dual_mov_b32 v2, s4 :: v_dual_mov_b32 v3, s5
	s_sleep 1
	global_store_b64 v[10:11], v[4:5], off
	global_wb scope:SCOPE_SYS
	s_wait_storecnt 0x0
	s_wait_xcnt 0x0
	global_atomic_cmpswap_b64 v[2:3], v12, v[2:5], s[2:3] offset:32 th:TH_ATOMIC_RETURN scope:SCOPE_SYS
	s_wait_loadcnt 0x0
	v_cmp_eq_u64_e32 vcc_lo, v[2:3], v[4:5]
	v_mov_b64_e32 v[4:5], v[2:3]
	s_or_b32 s7, vcc_lo, s7
	s_delay_alu instid0(SALU_CYCLE_1)
	s_and_not1_b32 exec_lo, exec_lo, s7
	s_cbranch_execnz .LBB1_11
.LBB1_12:
	s_or_b32 exec_lo, exec_lo, s6
	v_mov_b32_e32 v5, 0
	s_mov_b32 s7, exec_lo
	s_mov_b32 s6, exec_lo
	v_mbcnt_lo_u32_b32 v4, s7, 0
	global_load_b64 v[2:3], v5, s[2:3] offset:16
	s_wait_xcnt 0x0
	v_cmpx_eq_u32_e32 0, v4
	s_cbranch_execz .LBB1_14
; %bb.13:
	s_bcnt1_i32_b32 s7, s7
	s_delay_alu instid0(SALU_CYCLE_1)
	v_mov_b32_e32 v4, s7
	global_wb scope:SCOPE_SYS
	s_wait_loadcnt 0x0
	s_wait_storecnt 0x0
	global_atomic_add_u64 v[2:3], v[4:5], off offset:8 scope:SCOPE_SYS
.LBB1_14:
	s_wait_xcnt 0x0
	s_or_b32 exec_lo, exec_lo, s6
	s_wait_loadcnt 0x0
	global_load_b64 v[4:5], v[2:3], off offset:16
	s_wait_loadcnt 0x0
	v_cmp_eq_u64_e32 vcc_lo, 0, v[4:5]
	s_cbranch_vccnz .LBB1_16
; %bb.15:
	global_load_b32 v2, v[2:3], off offset:24
	s_wait_xcnt 0x0
	v_mov_b32_e32 v3, 0
	s_wait_loadcnt 0x0
	v_readfirstlane_b32 s6, v2
	global_wb scope:SCOPE_SYS
	s_wait_storecnt 0x0
	global_store_b64 v[4:5], v[2:3], off scope:SCOPE_SYS
	s_and_b32 m0, s6, 0xffffff
	s_sendmsg sendmsg(MSG_INTERRUPT)
.LBB1_16:
	s_wait_xcnt 0x0
	s_or_b32 exec_lo, exec_lo, s1
	v_add_nc_u64_e32 v[2:3], v[6:7], v[0:1]
	s_branch .LBB1_20
.LBB1_17:                               ;   in Loop: Header=BB1_20 Depth=1
	s_wait_xcnt 0x0
	s_or_b32 exec_lo, exec_lo, s1
	s_delay_alu instid0(VALU_DEP_1)
	v_readfirstlane_b32 s1, v1
	s_cmp_eq_u32 s1, 0
	s_cbranch_scc1 .LBB1_19
; %bb.18:                               ;   in Loop: Header=BB1_20 Depth=1
	s_sleep 1
	s_cbranch_execnz .LBB1_20
	s_branch .LBB1_22
.LBB1_19:
	s_branch .LBB1_22
.LBB1_20:                               ; =>This Inner Loop Header: Depth=1
	v_mov_b32_e32 v1, 1
	s_and_saveexec_b32 s1, s0
	s_cbranch_execz .LBB1_17
; %bb.21:                               ;   in Loop: Header=BB1_20 Depth=1
	global_load_b32 v1, v[8:9], off offset:20 scope:SCOPE_SYS
	s_wait_loadcnt 0x0
	global_inv scope:SCOPE_SYS
	v_and_b32_e32 v1, 1, v1
	s_branch .LBB1_17
.LBB1_22:
	global_load_b64 v[2:3], v[2:3], off
	s_wait_xcnt 0x0
	s_and_saveexec_b32 s6, s0
	s_cbranch_execz .LBB1_26
; %bb.23:
	v_mov_b32_e32 v1, 0
	s_clause 0x2
	global_load_b64 v[4:5], v1, s[2:3] offset:40
	global_load_b64 v[12:13], v1, s[2:3] offset:24 scope:SCOPE_SYS
	global_load_b64 v[6:7], v1, s[2:3]
	s_wait_loadcnt 0x2
	v_readfirstlane_b32 s8, v4
	v_readfirstlane_b32 s9, v5
	s_add_nc_u64 s[0:1], s[8:9], 1
	s_delay_alu instid0(SALU_CYCLE_1) | instskip(NEXT) | instid1(SALU_CYCLE_1)
	s_add_nc_u64 s[4:5], s[0:1], s[4:5]
	s_cmp_eq_u64 s[4:5], 0
	s_cselect_b32 s1, s1, s5
	s_cselect_b32 s0, s0, s4
	v_mov_b32_e32 v11, s1
	s_and_b64 s[4:5], s[0:1], s[8:9]
	v_mov_b32_e32 v10, s0
	s_mul_u64 s[4:5], s[4:5], 24
	s_wait_loadcnt 0x0
	v_add_nc_u64_e32 v[8:9], s[4:5], v[6:7]
	global_store_b64 v[8:9], v[12:13], off
	global_wb scope:SCOPE_SYS
	s_wait_storecnt 0x0
	s_wait_xcnt 0x0
	global_atomic_cmpswap_b64 v[6:7], v1, v[10:13], s[2:3] offset:24 th:TH_ATOMIC_RETURN scope:SCOPE_SYS
	s_wait_loadcnt 0x0
	v_cmp_ne_u64_e32 vcc_lo, v[6:7], v[12:13]
	s_and_b32 exec_lo, exec_lo, vcc_lo
	s_cbranch_execz .LBB1_26
; %bb.24:
	s_mov_b32 s4, 0
.LBB1_25:                               ; =>This Inner Loop Header: Depth=1
	v_dual_mov_b32 v4, s0 :: v_dual_mov_b32 v5, s1
	s_sleep 1
	global_store_b64 v[8:9], v[6:7], off
	global_wb scope:SCOPE_SYS
	s_wait_storecnt 0x0
	s_wait_xcnt 0x0
	global_atomic_cmpswap_b64 v[4:5], v1, v[4:7], s[2:3] offset:24 th:TH_ATOMIC_RETURN scope:SCOPE_SYS
	s_wait_loadcnt 0x0
	v_cmp_eq_u64_e32 vcc_lo, v[4:5], v[6:7]
	v_mov_b64_e32 v[6:7], v[4:5]
	s_or_b32 s4, vcc_lo, s4
	s_delay_alu instid0(SALU_CYCLE_1)
	s_and_not1_b32 exec_lo, exec_lo, s4
	s_cbranch_execnz .LBB1_25
.LBB1_26:
	s_or_b32 exec_lo, exec_lo, s6
	s_get_pc_i64 s[4:5]
	s_add_nc_u64 s[4:5], s[4:5], .str@rel64+4
	s_mov_b64 s[6:7], 0
	s_cmp_lg_u64 s[4:5], 0
	s_cselect_b32 s8, -1, 0
	s_cmp_eq_u64 s[4:5], 0
	s_cbranch_scc1 .LBB1_30
; %bb.27:
	s_get_pc_i64 s[0:1]
	s_add_nc_u64 s[0:1], s[0:1], .str@rel64+3
.LBB1_28:                               ; =>This Inner Loop Header: Depth=1
	s_load_u8 s6, s[0:1], 0x1
	s_wait_xcnt 0x0
	s_add_nc_u64 s[0:1], s[0:1], 1
	s_wait_kmcnt 0x0
	s_cmp_lg_u32 s6, 0
	s_cbranch_scc1 .LBB1_28
; %bb.29:
	s_get_pc_i64 s[6:7]
	s_add_nc_u64 s[6:7], s[6:7], .str@rel64+4
	s_delay_alu instid0(SALU_CYCLE_1) | instskip(NEXT) | instid1(SALU_CYCLE_1)
	s_sub_nc_u64 s[0:1], s[0:1], s[6:7]
	s_add_nc_u64 s[6:7], s[0:1], 1
.LBB1_30:
	s_and_b32 vcc_lo, exec_lo, s8
	s_cbranch_vccz .LBB1_109
; %bb.31:
	v_mov_b64_e32 v[6:7], 0x100000002
	s_wait_loadcnt 0x0
	v_dual_mov_b32 v9, v3 :: v_dual_bitop2_b32 v8, -3, v2 bitop3:0x40
	v_mov_b32_e32 v5, 0
	s_branch .LBB1_33
.LBB1_32:                               ;   in Loop: Header=BB1_33 Depth=1
	s_or_b32 exec_lo, exec_lo, s12
	s_sub_nc_u64 s[6:7], s[6:7], s[8:9]
	s_add_nc_u64 s[4:5], s[4:5], s[8:9]
	s_cmp_lg_u64 s[6:7], 0
	s_cbranch_scc0 .LBB1_108
.LBB1_33:                               ; =>This Loop Header: Depth=1
                                        ;     Child Loop BB1_36 Depth 2
                                        ;     Child Loop BB1_43 Depth 2
	;; [unrolled: 1-line block ×11, first 2 shown]
	s_wait_loadcnt 0x0
	v_min_u64 v[10:11], s[6:7], 56
	v_cmp_gt_u64_e64 s0, s[6:7], 7
	s_and_b32 vcc_lo, exec_lo, s0
	v_readfirstlane_b32 s8, v10
	v_readfirstlane_b32 s9, v11
	s_cbranch_vccnz .LBB1_38
; %bb.34:                               ;   in Loop: Header=BB1_33 Depth=1
	v_mov_b64_e32 v[10:11], 0
	s_cmp_eq_u64 s[6:7], 0
	s_cbranch_scc1 .LBB1_37
; %bb.35:                               ;   in Loop: Header=BB1_33 Depth=1
	s_mov_b64 s[0:1], 0
	s_mov_b64 s[10:11], 0
.LBB1_36:                               ;   Parent Loop BB1_33 Depth=1
                                        ; =>  This Inner Loop Header: Depth=2
	s_wait_xcnt 0x0
	s_add_nc_u64 s[12:13], s[4:5], s[10:11]
	s_add_nc_u64 s[10:11], s[10:11], 1
	global_load_u8 v1, v5, s[12:13]
	s_cmp_lg_u32 s8, s10
	s_wait_loadcnt 0x0
	v_and_b32_e32 v4, 0xffff, v1
	s_delay_alu instid0(VALU_DEP_1) | instskip(SKIP_1) | instid1(VALU_DEP_1)
	v_lshlrev_b64_e32 v[12:13], s0, v[4:5]
	s_add_nc_u64 s[0:1], s[0:1], 8
	v_or_b32_e32 v10, v12, v10
	s_delay_alu instid0(VALU_DEP_2)
	v_or_b32_e32 v11, v13, v11
	s_cbranch_scc1 .LBB1_36
.LBB1_37:                               ;   in Loop: Header=BB1_33 Depth=1
	s_mov_b64 s[10:11], s[4:5]
	s_mov_b32 s14, 0
	s_cbranch_execz .LBB1_39
	s_branch .LBB1_40
.LBB1_38:                               ;   in Loop: Header=BB1_33 Depth=1
	s_add_nc_u64 s[10:11], s[4:5], 8
	s_mov_b32 s14, 0
.LBB1_39:                               ;   in Loop: Header=BB1_33 Depth=1
	global_load_b64 v[10:11], v5, s[4:5]
	s_add_co_i32 s14, s8, -8
.LBB1_40:                               ;   in Loop: Header=BB1_33 Depth=1
	s_delay_alu instid0(SALU_CYCLE_1)
	s_cmp_gt_u32 s14, 7
	s_cbranch_scc1 .LBB1_45
; %bb.41:                               ;   in Loop: Header=BB1_33 Depth=1
	v_mov_b64_e32 v[12:13], 0
	s_cmp_eq_u32 s14, 0
	s_cbranch_scc1 .LBB1_44
; %bb.42:                               ;   in Loop: Header=BB1_33 Depth=1
	s_mov_b64 s[0:1], 0
	s_wait_xcnt 0x0
	s_mov_b64 s[12:13], 0
.LBB1_43:                               ;   Parent Loop BB1_33 Depth=1
                                        ; =>  This Inner Loop Header: Depth=2
	s_wait_xcnt 0x0
	s_add_nc_u64 s[16:17], s[10:11], s[12:13]
	s_add_nc_u64 s[12:13], s[12:13], 1
	global_load_u8 v1, v5, s[16:17]
	s_cmp_lg_u32 s14, s12
	s_wait_loadcnt 0x0
	v_and_b32_e32 v4, 0xffff, v1
	s_delay_alu instid0(VALU_DEP_1) | instskip(SKIP_1) | instid1(VALU_DEP_1)
	v_lshlrev_b64_e32 v[14:15], s0, v[4:5]
	s_add_nc_u64 s[0:1], s[0:1], 8
	v_or_b32_e32 v12, v14, v12
	s_delay_alu instid0(VALU_DEP_2)
	v_or_b32_e32 v13, v15, v13
	s_cbranch_scc1 .LBB1_43
.LBB1_44:                               ;   in Loop: Header=BB1_33 Depth=1
	s_wait_xcnt 0x0
	s_mov_b64 s[0:1], s[10:11]
	s_mov_b32 s15, 0
	s_cbranch_execz .LBB1_46
	s_branch .LBB1_47
.LBB1_45:                               ;   in Loop: Header=BB1_33 Depth=1
	s_add_nc_u64 s[0:1], s[10:11], 8
	s_wait_xcnt 0x0
                                        ; implicit-def: $vgpr12_vgpr13
	s_mov_b32 s15, 0
.LBB1_46:                               ;   in Loop: Header=BB1_33 Depth=1
	global_load_b64 v[12:13], v5, s[10:11]
	s_add_co_i32 s15, s14, -8
.LBB1_47:                               ;   in Loop: Header=BB1_33 Depth=1
	s_delay_alu instid0(SALU_CYCLE_1)
	s_cmp_gt_u32 s15, 7
	s_cbranch_scc1 .LBB1_52
; %bb.48:                               ;   in Loop: Header=BB1_33 Depth=1
	v_mov_b64_e32 v[14:15], 0
	s_cmp_eq_u32 s15, 0
	s_cbranch_scc1 .LBB1_51
; %bb.49:                               ;   in Loop: Header=BB1_33 Depth=1
	s_wait_xcnt 0x0
	s_mov_b64 s[10:11], 0
	s_mov_b64 s[12:13], 0
.LBB1_50:                               ;   Parent Loop BB1_33 Depth=1
                                        ; =>  This Inner Loop Header: Depth=2
	s_wait_xcnt 0x0
	s_add_nc_u64 s[16:17], s[0:1], s[12:13]
	s_add_nc_u64 s[12:13], s[12:13], 1
	global_load_u8 v1, v5, s[16:17]
	s_cmp_lg_u32 s15, s12
	s_wait_loadcnt 0x0
	v_and_b32_e32 v4, 0xffff, v1
	s_delay_alu instid0(VALU_DEP_1) | instskip(SKIP_1) | instid1(VALU_DEP_1)
	v_lshlrev_b64_e32 v[16:17], s10, v[4:5]
	s_add_nc_u64 s[10:11], s[10:11], 8
	v_or_b32_e32 v14, v16, v14
	s_delay_alu instid0(VALU_DEP_2)
	v_or_b32_e32 v15, v17, v15
	s_cbranch_scc1 .LBB1_50
.LBB1_51:                               ;   in Loop: Header=BB1_33 Depth=1
	s_wait_xcnt 0x0
	s_mov_b64 s[10:11], s[0:1]
	s_mov_b32 s14, 0
	s_cbranch_execz .LBB1_53
	s_branch .LBB1_54
.LBB1_52:                               ;   in Loop: Header=BB1_33 Depth=1
	s_wait_xcnt 0x0
	s_add_nc_u64 s[10:11], s[0:1], 8
	s_mov_b32 s14, 0
.LBB1_53:                               ;   in Loop: Header=BB1_33 Depth=1
	global_load_b64 v[14:15], v5, s[0:1]
	s_add_co_i32 s14, s15, -8
.LBB1_54:                               ;   in Loop: Header=BB1_33 Depth=1
	s_delay_alu instid0(SALU_CYCLE_1)
	s_cmp_gt_u32 s14, 7
	s_cbranch_scc1 .LBB1_59
; %bb.55:                               ;   in Loop: Header=BB1_33 Depth=1
	v_mov_b64_e32 v[16:17], 0
	s_cmp_eq_u32 s14, 0
	s_cbranch_scc1 .LBB1_58
; %bb.56:                               ;   in Loop: Header=BB1_33 Depth=1
	s_wait_xcnt 0x0
	s_mov_b64 s[0:1], 0
	s_mov_b64 s[12:13], 0
.LBB1_57:                               ;   Parent Loop BB1_33 Depth=1
                                        ; =>  This Inner Loop Header: Depth=2
	s_wait_xcnt 0x0
	s_add_nc_u64 s[16:17], s[10:11], s[12:13]
	s_add_nc_u64 s[12:13], s[12:13], 1
	global_load_u8 v1, v5, s[16:17]
	s_cmp_lg_u32 s14, s12
	s_wait_loadcnt 0x0
	v_and_b32_e32 v4, 0xffff, v1
	s_delay_alu instid0(VALU_DEP_1) | instskip(SKIP_1) | instid1(VALU_DEP_1)
	v_lshlrev_b64_e32 v[18:19], s0, v[4:5]
	s_add_nc_u64 s[0:1], s[0:1], 8
	v_or_b32_e32 v16, v18, v16
	s_delay_alu instid0(VALU_DEP_2)
	v_or_b32_e32 v17, v19, v17
	s_cbranch_scc1 .LBB1_57
.LBB1_58:                               ;   in Loop: Header=BB1_33 Depth=1
	s_wait_xcnt 0x0
	s_mov_b64 s[0:1], s[10:11]
	s_mov_b32 s15, 0
	s_cbranch_execz .LBB1_60
	s_branch .LBB1_61
.LBB1_59:                               ;   in Loop: Header=BB1_33 Depth=1
	s_wait_xcnt 0x0
	s_add_nc_u64 s[0:1], s[10:11], 8
                                        ; implicit-def: $vgpr16_vgpr17
	s_mov_b32 s15, 0
.LBB1_60:                               ;   in Loop: Header=BB1_33 Depth=1
	global_load_b64 v[16:17], v5, s[10:11]
	s_add_co_i32 s15, s14, -8
.LBB1_61:                               ;   in Loop: Header=BB1_33 Depth=1
	s_delay_alu instid0(SALU_CYCLE_1)
	s_cmp_gt_u32 s15, 7
	s_cbranch_scc1 .LBB1_66
; %bb.62:                               ;   in Loop: Header=BB1_33 Depth=1
	v_mov_b64_e32 v[18:19], 0
	s_cmp_eq_u32 s15, 0
	s_cbranch_scc1 .LBB1_65
; %bb.63:                               ;   in Loop: Header=BB1_33 Depth=1
	s_wait_xcnt 0x0
	s_mov_b64 s[10:11], 0
	s_mov_b64 s[12:13], 0
.LBB1_64:                               ;   Parent Loop BB1_33 Depth=1
                                        ; =>  This Inner Loop Header: Depth=2
	s_wait_xcnt 0x0
	s_add_nc_u64 s[16:17], s[0:1], s[12:13]
	s_add_nc_u64 s[12:13], s[12:13], 1
	global_load_u8 v1, v5, s[16:17]
	s_cmp_lg_u32 s15, s12
	s_wait_loadcnt 0x0
	v_and_b32_e32 v4, 0xffff, v1
	s_delay_alu instid0(VALU_DEP_1) | instskip(SKIP_1) | instid1(VALU_DEP_1)
	v_lshlrev_b64_e32 v[20:21], s10, v[4:5]
	s_add_nc_u64 s[10:11], s[10:11], 8
	v_or_b32_e32 v18, v20, v18
	s_delay_alu instid0(VALU_DEP_2)
	v_or_b32_e32 v19, v21, v19
	s_cbranch_scc1 .LBB1_64
.LBB1_65:                               ;   in Loop: Header=BB1_33 Depth=1
	s_wait_xcnt 0x0
	s_mov_b64 s[10:11], s[0:1]
	s_mov_b32 s14, 0
	s_cbranch_execz .LBB1_67
	s_branch .LBB1_68
.LBB1_66:                               ;   in Loop: Header=BB1_33 Depth=1
	s_wait_xcnt 0x0
	s_add_nc_u64 s[10:11], s[0:1], 8
	s_mov_b32 s14, 0
.LBB1_67:                               ;   in Loop: Header=BB1_33 Depth=1
	global_load_b64 v[18:19], v5, s[0:1]
	s_add_co_i32 s14, s15, -8
.LBB1_68:                               ;   in Loop: Header=BB1_33 Depth=1
	s_delay_alu instid0(SALU_CYCLE_1)
	s_cmp_gt_u32 s14, 7
	s_cbranch_scc1 .LBB1_73
; %bb.69:                               ;   in Loop: Header=BB1_33 Depth=1
	v_mov_b64_e32 v[20:21], 0
	s_cmp_eq_u32 s14, 0
	s_cbranch_scc1 .LBB1_72
; %bb.70:                               ;   in Loop: Header=BB1_33 Depth=1
	s_wait_xcnt 0x0
	s_mov_b64 s[0:1], 0
	s_mov_b64 s[12:13], 0
.LBB1_71:                               ;   Parent Loop BB1_33 Depth=1
                                        ; =>  This Inner Loop Header: Depth=2
	s_wait_xcnt 0x0
	s_add_nc_u64 s[16:17], s[10:11], s[12:13]
	s_add_nc_u64 s[12:13], s[12:13], 1
	global_load_u8 v1, v5, s[16:17]
	s_cmp_lg_u32 s14, s12
	s_wait_loadcnt 0x0
	v_and_b32_e32 v4, 0xffff, v1
	s_delay_alu instid0(VALU_DEP_1) | instskip(SKIP_1) | instid1(VALU_DEP_1)
	v_lshlrev_b64_e32 v[22:23], s0, v[4:5]
	s_add_nc_u64 s[0:1], s[0:1], 8
	v_or_b32_e32 v20, v22, v20
	s_delay_alu instid0(VALU_DEP_2)
	v_or_b32_e32 v21, v23, v21
	s_cbranch_scc1 .LBB1_71
.LBB1_72:                               ;   in Loop: Header=BB1_33 Depth=1
	s_wait_xcnt 0x0
	s_mov_b64 s[0:1], s[10:11]
	s_mov_b32 s15, 0
	s_cbranch_execz .LBB1_74
	s_branch .LBB1_75
.LBB1_73:                               ;   in Loop: Header=BB1_33 Depth=1
	s_wait_xcnt 0x0
	s_add_nc_u64 s[0:1], s[10:11], 8
                                        ; implicit-def: $vgpr20_vgpr21
	s_mov_b32 s15, 0
.LBB1_74:                               ;   in Loop: Header=BB1_33 Depth=1
	global_load_b64 v[20:21], v5, s[10:11]
	s_add_co_i32 s15, s14, -8
.LBB1_75:                               ;   in Loop: Header=BB1_33 Depth=1
	s_delay_alu instid0(SALU_CYCLE_1)
	s_cmp_gt_u32 s15, 7
	s_cbranch_scc1 .LBB1_80
; %bb.76:                               ;   in Loop: Header=BB1_33 Depth=1
	v_mov_b64_e32 v[22:23], 0
	s_cmp_eq_u32 s15, 0
	s_cbranch_scc1 .LBB1_79
; %bb.77:                               ;   in Loop: Header=BB1_33 Depth=1
	s_wait_xcnt 0x0
	s_mov_b64 s[10:11], 0
	s_mov_b64 s[12:13], s[0:1]
.LBB1_78:                               ;   Parent Loop BB1_33 Depth=1
                                        ; =>  This Inner Loop Header: Depth=2
	global_load_u8 v1, v5, s[12:13]
	s_add_co_i32 s15, s15, -1
	s_wait_xcnt 0x0
	s_add_nc_u64 s[12:13], s[12:13], 1
	s_cmp_lg_u32 s15, 0
	s_wait_loadcnt 0x0
	v_and_b32_e32 v4, 0xffff, v1
	s_delay_alu instid0(VALU_DEP_1) | instskip(SKIP_1) | instid1(VALU_DEP_1)
	v_lshlrev_b64_e32 v[24:25], s10, v[4:5]
	s_add_nc_u64 s[10:11], s[10:11], 8
	v_or_b32_e32 v22, v24, v22
	s_delay_alu instid0(VALU_DEP_2)
	v_or_b32_e32 v23, v25, v23
	s_cbranch_scc1 .LBB1_78
.LBB1_79:                               ;   in Loop: Header=BB1_33 Depth=1
	s_wait_xcnt 0x0
	s_cbranch_execz .LBB1_81
	s_branch .LBB1_82
.LBB1_80:                               ;   in Loop: Header=BB1_33 Depth=1
	s_wait_xcnt 0x0
.LBB1_81:                               ;   in Loop: Header=BB1_33 Depth=1
	global_load_b64 v[22:23], v5, s[0:1]
.LBB1_82:                               ;   in Loop: Header=BB1_33 Depth=1
	s_wait_xcnt 0x0
	v_readfirstlane_b32 s0, v32
	v_mov_b64_e32 v[28:29], 0
	s_delay_alu instid0(VALU_DEP_2)
	v_cmp_eq_u32_e64 s0, s0, v32
	s_and_saveexec_b32 s1, s0
	s_cbranch_execz .LBB1_88
; %bb.83:                               ;   in Loop: Header=BB1_33 Depth=1
	global_load_b64 v[26:27], v5, s[2:3] offset:24 scope:SCOPE_SYS
	s_wait_loadcnt 0x0
	global_inv scope:SCOPE_SYS
	s_clause 0x1
	global_load_b64 v[24:25], v5, s[2:3] offset:40
	global_load_b64 v[28:29], v5, s[2:3]
	s_mov_b32 s10, exec_lo
	s_wait_loadcnt 0x1
	v_and_b32_e32 v24, v24, v26
	v_and_b32_e32 v25, v25, v27
	s_delay_alu instid0(VALU_DEP_1) | instskip(SKIP_1) | instid1(VALU_DEP_1)
	v_mul_u64_e32 v[24:25], 24, v[24:25]
	s_wait_loadcnt 0x0
	v_add_nc_u64_e32 v[24:25], v[28:29], v[24:25]
	global_load_b64 v[24:25], v[24:25], off scope:SCOPE_SYS
	s_wait_xcnt 0x0
	s_wait_loadcnt 0x0
	global_atomic_cmpswap_b64 v[28:29], v5, v[24:27], s[2:3] offset:24 th:TH_ATOMIC_RETURN scope:SCOPE_SYS
	s_wait_loadcnt 0x0
	global_inv scope:SCOPE_SYS
	s_wait_xcnt 0x0
	v_cmpx_ne_u64_e64 v[28:29], v[26:27]
	s_cbranch_execz .LBB1_87
; %bb.84:                               ;   in Loop: Header=BB1_33 Depth=1
	s_mov_b32 s11, 0
.LBB1_85:                               ;   Parent Loop BB1_33 Depth=1
                                        ; =>  This Inner Loop Header: Depth=2
	s_sleep 1
	s_clause 0x1
	global_load_b64 v[24:25], v5, s[2:3] offset:40
	global_load_b64 v[30:31], v5, s[2:3]
	v_mov_b64_e32 v[26:27], v[28:29]
	s_wait_loadcnt 0x1
	s_delay_alu instid0(VALU_DEP_1) | instskip(SKIP_1) | instid1(VALU_DEP_1)
	v_and_b32_e32 v1, v24, v26
	s_wait_loadcnt 0x0
	v_mad_nc_u64_u32 v[28:29], v1, 24, v[30:31]
	s_delay_alu instid0(VALU_DEP_3) | instskip(NEXT) | instid1(VALU_DEP_1)
	v_and_b32_e32 v1, v25, v27
	v_mad_u32 v29, v1, 24, v29
	global_load_b64 v[24:25], v[28:29], off scope:SCOPE_SYS
	s_wait_xcnt 0x0
	s_wait_loadcnt 0x0
	global_atomic_cmpswap_b64 v[28:29], v5, v[24:27], s[2:3] offset:24 th:TH_ATOMIC_RETURN scope:SCOPE_SYS
	s_wait_loadcnt 0x0
	global_inv scope:SCOPE_SYS
	v_cmp_eq_u64_e32 vcc_lo, v[28:29], v[26:27]
	s_or_b32 s11, vcc_lo, s11
	s_wait_xcnt 0x0
	s_and_not1_b32 exec_lo, exec_lo, s11
	s_cbranch_execnz .LBB1_85
; %bb.86:                               ;   in Loop: Header=BB1_33 Depth=1
	s_or_b32 exec_lo, exec_lo, s11
.LBB1_87:                               ;   in Loop: Header=BB1_33 Depth=1
	s_delay_alu instid0(SALU_CYCLE_1)
	s_or_b32 exec_lo, exec_lo, s10
.LBB1_88:                               ;   in Loop: Header=BB1_33 Depth=1
	s_delay_alu instid0(SALU_CYCLE_1)
	s_or_b32 exec_lo, exec_lo, s1
	s_clause 0x1
	global_load_b64 v[30:31], v5, s[2:3] offset:40
	global_load_b128 v[24:27], v5, s[2:3]
	v_readfirstlane_b32 s10, v28
	v_readfirstlane_b32 s11, v29
	s_mov_b32 s1, exec_lo
	s_wait_loadcnt 0x1
	v_and_b32_e32 v30, s10, v30
	v_and_b32_e32 v31, s11, v31
	s_delay_alu instid0(VALU_DEP_1) | instskip(SKIP_1) | instid1(VALU_DEP_1)
	v_mul_u64_e32 v[28:29], 24, v[30:31]
	s_wait_loadcnt 0x0
	v_add_nc_u64_e32 v[28:29], v[24:25], v[28:29]
	s_wait_xcnt 0x0
	s_and_saveexec_b32 s12, s0
	s_cbranch_execz .LBB1_90
; %bb.89:                               ;   in Loop: Header=BB1_33 Depth=1
	v_mov_b32_e32 v4, s1
	global_store_b128 v[28:29], v[4:7], off offset:8
.LBB1_90:                               ;   in Loop: Header=BB1_33 Depth=1
	s_wait_xcnt 0x0
	s_or_b32 exec_lo, exec_lo, s12
	v_cmp_gt_u64_e64 s1, s[6:7], 56
	v_lshlrev_b64_e32 v[30:31], 12, v[30:31]
	v_and_b32_e32 v1, 0xffffff1f, v8
	s_and_b32 s1, s1, exec_lo
	s_delay_alu instid0(VALU_DEP_2) | instskip(SKIP_4) | instid1(VALU_DEP_2)
	v_add_nc_u64_e32 v[26:27], v[26:27], v[30:31]
	s_cselect_b32 s1, 0, 2
	s_lshl_b32 s12, s8, 2
	v_or_b32_e32 v1, s1, v1
	s_add_co_i32 s1, s12, 28
	v_readfirstlane_b32 s12, v26
	s_delay_alu instid0(VALU_DEP_3) | instskip(NEXT) | instid1(VALU_DEP_3)
	v_readfirstlane_b32 s13, v27
	v_and_or_b32 v8, 0x1e0, s1, v1
	s_clause 0x3
	global_store_b128 v0, v[8:11], s[12:13]
	global_store_b128 v0, v[12:15], s[12:13] offset:16
	global_store_b128 v0, v[16:19], s[12:13] offset:32
	;; [unrolled: 1-line block ×3, first 2 shown]
	s_wait_xcnt 0x0
	s_and_saveexec_b32 s1, s0
	s_cbranch_execz .LBB1_98
; %bb.91:                               ;   in Loop: Header=BB1_33 Depth=1
	s_clause 0x1
	global_load_b64 v[16:17], v5, s[2:3] offset:32 scope:SCOPE_SYS
	global_load_b64 v[8:9], v5, s[2:3] offset:40
	s_mov_b32 s12, exec_lo
	v_dual_mov_b32 v14, s10 :: v_dual_mov_b32 v15, s11
	s_wait_loadcnt 0x0
	v_and_b32_e32 v9, s11, v9
	v_and_b32_e32 v8, s10, v8
	s_delay_alu instid0(VALU_DEP_1) | instskip(NEXT) | instid1(VALU_DEP_1)
	v_mul_u64_e32 v[8:9], 24, v[8:9]
	v_add_nc_u64_e32 v[12:13], v[24:25], v[8:9]
	global_store_b64 v[12:13], v[16:17], off
	global_wb scope:SCOPE_SYS
	s_wait_storecnt 0x0
	s_wait_xcnt 0x0
	global_atomic_cmpswap_b64 v[10:11], v5, v[14:17], s[2:3] offset:32 th:TH_ATOMIC_RETURN scope:SCOPE_SYS
	s_wait_loadcnt 0x0
	v_cmpx_ne_u64_e64 v[10:11], v[16:17]
	s_cbranch_execz .LBB1_94
; %bb.92:                               ;   in Loop: Header=BB1_33 Depth=1
	s_mov_b32 s13, 0
.LBB1_93:                               ;   Parent Loop BB1_33 Depth=1
                                        ; =>  This Inner Loop Header: Depth=2
	v_dual_mov_b32 v8, s10 :: v_dual_mov_b32 v9, s11
	s_sleep 1
	global_store_b64 v[12:13], v[10:11], off
	global_wb scope:SCOPE_SYS
	s_wait_storecnt 0x0
	s_wait_xcnt 0x0
	global_atomic_cmpswap_b64 v[8:9], v5, v[8:11], s[2:3] offset:32 th:TH_ATOMIC_RETURN scope:SCOPE_SYS
	s_wait_loadcnt 0x0
	v_cmp_eq_u64_e32 vcc_lo, v[8:9], v[10:11]
	v_mov_b64_e32 v[10:11], v[8:9]
	s_or_b32 s13, vcc_lo, s13
	s_delay_alu instid0(SALU_CYCLE_1)
	s_and_not1_b32 exec_lo, exec_lo, s13
	s_cbranch_execnz .LBB1_93
.LBB1_94:                               ;   in Loop: Header=BB1_33 Depth=1
	s_or_b32 exec_lo, exec_lo, s12
	global_load_b64 v[8:9], v5, s[2:3] offset:16
	s_mov_b32 s13, exec_lo
	s_mov_b32 s12, exec_lo
	v_mbcnt_lo_u32_b32 v1, s13, 0
	s_wait_xcnt 0x0
	s_delay_alu instid0(VALU_DEP_1)
	v_cmpx_eq_u32_e32 0, v1
	s_cbranch_execz .LBB1_96
; %bb.95:                               ;   in Loop: Header=BB1_33 Depth=1
	s_bcnt1_i32_b32 s13, s13
	s_delay_alu instid0(SALU_CYCLE_1)
	v_mov_b32_e32 v4, s13
	global_wb scope:SCOPE_SYS
	s_wait_loadcnt 0x0
	s_wait_storecnt 0x0
	global_atomic_add_u64 v[8:9], v[4:5], off offset:8 scope:SCOPE_SYS
.LBB1_96:                               ;   in Loop: Header=BB1_33 Depth=1
	s_wait_xcnt 0x0
	s_or_b32 exec_lo, exec_lo, s12
	s_wait_loadcnt 0x0
	global_load_b64 v[10:11], v[8:9], off offset:16
	s_wait_loadcnt 0x0
	v_cmp_eq_u64_e32 vcc_lo, 0, v[10:11]
	s_cbranch_vccnz .LBB1_98
; %bb.97:                               ;   in Loop: Header=BB1_33 Depth=1
	global_load_b32 v4, v[8:9], off offset:24
	s_wait_loadcnt 0x0
	v_readfirstlane_b32 s12, v4
	global_wb scope:SCOPE_SYS
	s_wait_storecnt 0x0
	s_wait_xcnt 0x0
	global_store_b64 v[10:11], v[4:5], off scope:SCOPE_SYS
	s_and_b32 m0, s12, 0xffffff
	s_sendmsg sendmsg(MSG_INTERRUPT)
.LBB1_98:                               ;   in Loop: Header=BB1_33 Depth=1
	s_wait_xcnt 0x0
	s_or_b32 exec_lo, exec_lo, s1
	v_mov_b32_e32 v1, v5
	s_delay_alu instid0(VALU_DEP_1)
	v_add_nc_u64_e32 v[8:9], v[26:27], v[0:1]
	s_branch .LBB1_102
.LBB1_99:                               ;   in Loop: Header=BB1_102 Depth=2
	s_wait_xcnt 0x0
	s_or_b32 exec_lo, exec_lo, s1
	s_delay_alu instid0(VALU_DEP_1)
	v_readfirstlane_b32 s1, v1
	s_cmp_eq_u32 s1, 0
	s_cbranch_scc1 .LBB1_101
; %bb.100:                              ;   in Loop: Header=BB1_102 Depth=2
	s_sleep 1
	s_cbranch_execnz .LBB1_102
	s_branch .LBB1_104
.LBB1_101:                              ;   in Loop: Header=BB1_33 Depth=1
	s_branch .LBB1_104
.LBB1_102:                              ;   Parent Loop BB1_33 Depth=1
                                        ; =>  This Inner Loop Header: Depth=2
	v_mov_b32_e32 v1, 1
	s_and_saveexec_b32 s1, s0
	s_cbranch_execz .LBB1_99
; %bb.103:                              ;   in Loop: Header=BB1_102 Depth=2
	global_load_b32 v1, v[28:29], off offset:20 scope:SCOPE_SYS
	s_wait_loadcnt 0x0
	global_inv scope:SCOPE_SYS
	v_and_b32_e32 v1, 1, v1
	s_branch .LBB1_99
.LBB1_104:                              ;   in Loop: Header=BB1_33 Depth=1
	global_load_b128 v[8:11], v[8:9], off
	s_wait_xcnt 0x0
	s_and_saveexec_b32 s12, s0
	s_cbranch_execz .LBB1_32
; %bb.105:                              ;   in Loop: Header=BB1_33 Depth=1
	s_wait_loadcnt 0x0
	s_clause 0x2
	global_load_b64 v[10:11], v5, s[2:3] offset:40
	global_load_b64 v[18:19], v5, s[2:3] offset:24 scope:SCOPE_SYS
	global_load_b64 v[12:13], v5, s[2:3]
	s_wait_loadcnt 0x2
	v_readfirstlane_b32 s14, v10
	v_readfirstlane_b32 s15, v11
	s_add_nc_u64 s[0:1], s[14:15], 1
	s_delay_alu instid0(SALU_CYCLE_1) | instskip(NEXT) | instid1(SALU_CYCLE_1)
	s_add_nc_u64 s[10:11], s[0:1], s[10:11]
	s_cmp_eq_u64 s[10:11], 0
	s_cselect_b32 s1, s1, s11
	s_cselect_b32 s0, s0, s10
	s_delay_alu instid0(SALU_CYCLE_1) | instskip(SKIP_1) | instid1(SALU_CYCLE_1)
	v_dual_mov_b32 v17, s1 :: v_dual_mov_b32 v16, s0
	s_and_b64 s[10:11], s[0:1], s[14:15]
	s_mul_u64 s[10:11], s[10:11], 24
	s_wait_loadcnt 0x0
	v_add_nc_u64_e32 v[14:15], s[10:11], v[12:13]
	global_store_b64 v[14:15], v[18:19], off
	global_wb scope:SCOPE_SYS
	s_wait_storecnt 0x0
	s_wait_xcnt 0x0
	global_atomic_cmpswap_b64 v[12:13], v5, v[16:19], s[2:3] offset:24 th:TH_ATOMIC_RETURN scope:SCOPE_SYS
	s_wait_loadcnt 0x0
	v_cmp_ne_u64_e32 vcc_lo, v[12:13], v[18:19]
	s_and_b32 exec_lo, exec_lo, vcc_lo
	s_cbranch_execz .LBB1_32
; %bb.106:                              ;   in Loop: Header=BB1_33 Depth=1
	s_mov_b32 s10, 0
.LBB1_107:                              ;   Parent Loop BB1_33 Depth=1
                                        ; =>  This Inner Loop Header: Depth=2
	v_dual_mov_b32 v10, s0 :: v_dual_mov_b32 v11, s1
	s_sleep 1
	global_store_b64 v[14:15], v[12:13], off
	global_wb scope:SCOPE_SYS
	s_wait_storecnt 0x0
	s_wait_xcnt 0x0
	global_atomic_cmpswap_b64 v[10:11], v5, v[10:13], s[2:3] offset:24 th:TH_ATOMIC_RETURN scope:SCOPE_SYS
	s_wait_loadcnt 0x0
	v_cmp_eq_u64_e32 vcc_lo, v[10:11], v[12:13]
	v_mov_b64_e32 v[12:13], v[10:11]
	s_or_b32 s10, vcc_lo, s10
	s_delay_alu instid0(SALU_CYCLE_1)
	s_and_not1_b32 exec_lo, exec_lo, s10
	s_cbranch_execnz .LBB1_107
	s_branch .LBB1_32
.LBB1_108:
	s_branch .LBB1_136
.LBB1_109:
	s_cbranch_execz .LBB1_136
; %bb.110:
	v_readfirstlane_b32 s0, v32
	s_wait_loadcnt 0x0
	v_mov_b64_e32 v[10:11], 0
	s_delay_alu instid0(VALU_DEP_2)
	v_cmp_eq_u32_e64 s0, s0, v32
	s_and_saveexec_b32 s1, s0
	s_cbranch_execz .LBB1_116
; %bb.111:
	v_mov_b32_e32 v1, 0
	s_mov_b32 s4, exec_lo
	global_load_b64 v[6:7], v1, s[2:3] offset:24 scope:SCOPE_SYS
	s_wait_loadcnt 0x0
	global_inv scope:SCOPE_SYS
	s_clause 0x1
	global_load_b64 v[4:5], v1, s[2:3] offset:40
	global_load_b64 v[8:9], v1, s[2:3]
	s_wait_loadcnt 0x1
	v_and_b32_e32 v4, v4, v6
	v_and_b32_e32 v5, v5, v7
	s_delay_alu instid0(VALU_DEP_1) | instskip(SKIP_1) | instid1(VALU_DEP_1)
	v_mul_u64_e32 v[4:5], 24, v[4:5]
	s_wait_loadcnt 0x0
	v_add_nc_u64_e32 v[4:5], v[8:9], v[4:5]
	global_load_b64 v[4:5], v[4:5], off scope:SCOPE_SYS
	s_wait_xcnt 0x0
	s_wait_loadcnt 0x0
	global_atomic_cmpswap_b64 v[10:11], v1, v[4:7], s[2:3] offset:24 th:TH_ATOMIC_RETURN scope:SCOPE_SYS
	s_wait_loadcnt 0x0
	global_inv scope:SCOPE_SYS
	s_wait_xcnt 0x0
	v_cmpx_ne_u64_e64 v[10:11], v[6:7]
	s_cbranch_execz .LBB1_115
; %bb.112:
	s_mov_b32 s5, 0
.LBB1_113:                              ; =>This Inner Loop Header: Depth=1
	s_sleep 1
	s_clause 0x1
	global_load_b64 v[4:5], v1, s[2:3] offset:40
	global_load_b64 v[8:9], v1, s[2:3]
	v_mov_b64_e32 v[6:7], v[10:11]
	s_wait_loadcnt 0x1
	s_delay_alu instid0(VALU_DEP_1) | instskip(SKIP_1) | instid1(VALU_DEP_1)
	v_and_b32_e32 v4, v4, v6
	s_wait_loadcnt 0x0
	v_mad_nc_u64_u32 v[8:9], v4, 24, v[8:9]
	s_delay_alu instid0(VALU_DEP_3) | instskip(NEXT) | instid1(VALU_DEP_1)
	v_and_b32_e32 v4, v5, v7
	v_mad_u32 v9, v4, 24, v9
	global_load_b64 v[4:5], v[8:9], off scope:SCOPE_SYS
	s_wait_xcnt 0x0
	s_wait_loadcnt 0x0
	global_atomic_cmpswap_b64 v[10:11], v1, v[4:7], s[2:3] offset:24 th:TH_ATOMIC_RETURN scope:SCOPE_SYS
	s_wait_loadcnt 0x0
	global_inv scope:SCOPE_SYS
	v_cmp_eq_u64_e32 vcc_lo, v[10:11], v[6:7]
	s_or_b32 s5, vcc_lo, s5
	s_wait_xcnt 0x0
	s_and_not1_b32 exec_lo, exec_lo, s5
	s_cbranch_execnz .LBB1_113
; %bb.114:
	s_or_b32 exec_lo, exec_lo, s5
.LBB1_115:
	s_delay_alu instid0(SALU_CYCLE_1)
	s_or_b32 exec_lo, exec_lo, s4
.LBB1_116:
	s_delay_alu instid0(SALU_CYCLE_1)
	s_or_b32 exec_lo, exec_lo, s1
	v_readfirstlane_b32 s4, v10
	v_mov_b32_e32 v4, 0
	v_readfirstlane_b32 s5, v11
	s_mov_b32 s1, exec_lo
	s_clause 0x1
	global_load_b64 v[12:13], v4, s[2:3] offset:40
	global_load_b128 v[6:9], v4, s[2:3]
	s_wait_loadcnt 0x1
	v_and_b32_e32 v12, s4, v12
	v_and_b32_e32 v13, s5, v13
	s_delay_alu instid0(VALU_DEP_1) | instskip(SKIP_1) | instid1(VALU_DEP_1)
	v_mul_u64_e32 v[10:11], 24, v[12:13]
	s_wait_loadcnt 0x0
	v_add_nc_u64_e32 v[10:11], v[6:7], v[10:11]
	s_wait_xcnt 0x0
	s_and_saveexec_b32 s6, s0
	s_cbranch_execz .LBB1_118
; %bb.117:
	v_mov_b64_e32 v[16:17], 0x100000002
	v_dual_mov_b32 v14, s1 :: v_dual_mov_b32 v15, v4
	global_store_b128 v[10:11], v[14:17], off offset:8
.LBB1_118:
	s_wait_xcnt 0x0
	s_or_b32 exec_lo, exec_lo, s6
	v_lshlrev_b64_e32 v[12:13], 12, v[12:13]
	s_mov_b32 s8, 0
	v_and_or_b32 v2, 0xffffff1d, v2, 34
	s_mov_b32 s10, s8
	s_mov_b32 s11, s8
	;; [unrolled: 1-line block ×3, first 2 shown]
	v_mov_b32_e32 v5, v4
	v_add_nc_u64_e32 v[8:9], v[8:9], v[12:13]
	v_mov_b64_e32 v[14:15], s[10:11]
	v_mov_b64_e32 v[12:13], s[8:9]
	s_delay_alu instid0(VALU_DEP_3) | instskip(NEXT) | instid1(VALU_DEP_4)
	v_readfirstlane_b32 s6, v8
	v_readfirstlane_b32 s7, v9
	s_clause 0x3
	global_store_b128 v0, v[2:5], s[6:7]
	global_store_b128 v0, v[12:15], s[6:7] offset:16
	global_store_b128 v0, v[12:15], s[6:7] offset:32
	global_store_b128 v0, v[12:15], s[6:7] offset:48
	s_wait_xcnt 0x0
	s_and_saveexec_b32 s1, s0
	s_cbranch_execz .LBB1_126
; %bb.119:
	v_dual_mov_b32 v8, 0 :: v_dual_mov_b32 v13, s5
	s_mov_b32 s6, exec_lo
	s_clause 0x1
	global_load_b64 v[14:15], v8, s[2:3] offset:32 scope:SCOPE_SYS
	global_load_b64 v[0:1], v8, s[2:3] offset:40
	s_wait_loadcnt 0x0
	v_dual_mov_b32 v12, s4 :: v_dual_bitop2_b32 v1, s5, v1 bitop3:0x40
	v_and_b32_e32 v0, s4, v0
	s_delay_alu instid0(VALU_DEP_1) | instskip(NEXT) | instid1(VALU_DEP_1)
	v_mul_u64_e32 v[0:1], 24, v[0:1]
	v_add_nc_u64_e32 v[4:5], v[6:7], v[0:1]
	global_store_b64 v[4:5], v[14:15], off
	global_wb scope:SCOPE_SYS
	s_wait_storecnt 0x0
	s_wait_xcnt 0x0
	global_atomic_cmpswap_b64 v[2:3], v8, v[12:15], s[2:3] offset:32 th:TH_ATOMIC_RETURN scope:SCOPE_SYS
	s_wait_loadcnt 0x0
	v_cmpx_ne_u64_e64 v[2:3], v[14:15]
	s_cbranch_execz .LBB1_122
; %bb.120:
	s_mov_b32 s7, 0
.LBB1_121:                              ; =>This Inner Loop Header: Depth=1
	v_dual_mov_b32 v0, s4 :: v_dual_mov_b32 v1, s5
	s_sleep 1
	global_store_b64 v[4:5], v[2:3], off
	global_wb scope:SCOPE_SYS
	s_wait_storecnt 0x0
	s_wait_xcnt 0x0
	global_atomic_cmpswap_b64 v[0:1], v8, v[0:3], s[2:3] offset:32 th:TH_ATOMIC_RETURN scope:SCOPE_SYS
	s_wait_loadcnt 0x0
	v_cmp_eq_u64_e32 vcc_lo, v[0:1], v[2:3]
	v_mov_b64_e32 v[2:3], v[0:1]
	s_or_b32 s7, vcc_lo, s7
	s_delay_alu instid0(SALU_CYCLE_1)
	s_and_not1_b32 exec_lo, exec_lo, s7
	s_cbranch_execnz .LBB1_121
.LBB1_122:
	s_or_b32 exec_lo, exec_lo, s6
	v_mov_b32_e32 v3, 0
	s_mov_b32 s7, exec_lo
	s_mov_b32 s6, exec_lo
	v_mbcnt_lo_u32_b32 v2, s7, 0
	global_load_b64 v[0:1], v3, s[2:3] offset:16
	s_wait_xcnt 0x0
	v_cmpx_eq_u32_e32 0, v2
	s_cbranch_execz .LBB1_124
; %bb.123:
	s_bcnt1_i32_b32 s7, s7
	s_delay_alu instid0(SALU_CYCLE_1)
	v_mov_b32_e32 v2, s7
	global_wb scope:SCOPE_SYS
	s_wait_loadcnt 0x0
	s_wait_storecnt 0x0
	global_atomic_add_u64 v[0:1], v[2:3], off offset:8 scope:SCOPE_SYS
.LBB1_124:
	s_wait_xcnt 0x0
	s_or_b32 exec_lo, exec_lo, s6
	s_wait_loadcnt 0x0
	global_load_b64 v[2:3], v[0:1], off offset:16
	s_wait_loadcnt 0x0
	v_cmp_eq_u64_e32 vcc_lo, 0, v[2:3]
	s_cbranch_vccnz .LBB1_126
; %bb.125:
	global_load_b32 v0, v[0:1], off offset:24
	s_wait_xcnt 0x0
	v_mov_b32_e32 v1, 0
	s_wait_loadcnt 0x0
	v_readfirstlane_b32 s6, v0
	global_wb scope:SCOPE_SYS
	s_wait_storecnt 0x0
	global_store_b64 v[2:3], v[0:1], off scope:SCOPE_SYS
	s_and_b32 m0, s6, 0xffffff
	s_sendmsg sendmsg(MSG_INTERRUPT)
.LBB1_126:
	s_wait_xcnt 0x0
	s_or_b32 exec_lo, exec_lo, s1
	s_branch .LBB1_130
.LBB1_127:                              ;   in Loop: Header=BB1_130 Depth=1
	s_wait_xcnt 0x0
	s_or_b32 exec_lo, exec_lo, s1
	s_delay_alu instid0(VALU_DEP_1)
	v_readfirstlane_b32 s1, v0
	s_cmp_eq_u32 s1, 0
	s_cbranch_scc1 .LBB1_129
; %bb.128:                              ;   in Loop: Header=BB1_130 Depth=1
	s_sleep 1
	s_cbranch_execnz .LBB1_130
	s_branch .LBB1_132
.LBB1_129:
	s_branch .LBB1_132
.LBB1_130:                              ; =>This Inner Loop Header: Depth=1
	v_mov_b32_e32 v0, 1
	s_and_saveexec_b32 s1, s0
	s_cbranch_execz .LBB1_127
; %bb.131:                              ;   in Loop: Header=BB1_130 Depth=1
	global_load_b32 v0, v[10:11], off offset:20 scope:SCOPE_SYS
	s_wait_loadcnt 0x0
	global_inv scope:SCOPE_SYS
	v_and_b32_e32 v0, 1, v0
	s_branch .LBB1_127
.LBB1_132:
	s_and_saveexec_b32 s1, s0
	s_cbranch_execz .LBB1_136
; %bb.133:
	v_mov_b32_e32 v6, 0
	s_clause 0x2
	global_load_b64 v[0:1], v6, s[2:3] offset:40
	global_load_b64 v[10:11], v6, s[2:3] offset:24 scope:SCOPE_SYS
	global_load_b64 v[2:3], v6, s[2:3]
	s_wait_loadcnt 0x2
	v_readfirstlane_b32 s6, v0
	v_readfirstlane_b32 s7, v1
	s_add_nc_u64 s[0:1], s[6:7], 1
	s_delay_alu instid0(SALU_CYCLE_1) | instskip(NEXT) | instid1(SALU_CYCLE_1)
	s_add_nc_u64 s[4:5], s[0:1], s[4:5]
	s_cmp_eq_u64 s[4:5], 0
	s_cselect_b32 s1, s1, s5
	s_cselect_b32 s0, s0, s4
	v_mov_b32_e32 v9, s1
	s_and_b64 s[4:5], s[0:1], s[6:7]
	v_mov_b32_e32 v8, s0
	s_mul_u64 s[4:5], s[4:5], 24
	s_wait_loadcnt 0x0
	v_add_nc_u64_e32 v[4:5], s[4:5], v[2:3]
	global_store_b64 v[4:5], v[10:11], off
	global_wb scope:SCOPE_SYS
	s_wait_storecnt 0x0
	s_wait_xcnt 0x0
	global_atomic_cmpswap_b64 v[2:3], v6, v[8:11], s[2:3] offset:24 th:TH_ATOMIC_RETURN scope:SCOPE_SYS
	s_wait_loadcnt 0x0
	v_cmp_ne_u64_e32 vcc_lo, v[2:3], v[10:11]
	s_and_b32 exec_lo, exec_lo, vcc_lo
	s_cbranch_execz .LBB1_136
; %bb.134:
	s_mov_b32 s4, 0
.LBB1_135:                              ; =>This Inner Loop Header: Depth=1
	v_dual_mov_b32 v0, s0 :: v_dual_mov_b32 v1, s1
	s_sleep 1
	global_store_b64 v[4:5], v[2:3], off
	global_wb scope:SCOPE_SYS
	s_wait_storecnt 0x0
	s_wait_xcnt 0x0
	global_atomic_cmpswap_b64 v[0:1], v6, v[0:3], s[2:3] offset:24 th:TH_ATOMIC_RETURN scope:SCOPE_SYS
	s_wait_loadcnt 0x0
	v_cmp_eq_u64_e32 vcc_lo, v[0:1], v[2:3]
	v_mov_b64_e32 v[2:3], v[0:1]
	s_or_b32 s4, vcc_lo, s4
	s_delay_alu instid0(SALU_CYCLE_1)
	s_and_not1_b32 exec_lo, exec_lo, s4
	s_cbranch_execnz .LBB1_135
.LBB1_136:
	s_endpgm
	.section	.rodata,"a",@progbits
	.p2align	6, 0x0
	.amdhsa_kernel _ZN2at6native30tinygemm_m16n8k16_chunk_kernelINS0_10ALayout_RMILNS0_14KReductionTypeE0EEENS0_15BLayout_TC_int4ILi4ELi32EEES4_Li8ELi8EEEvPKvS8_S8_Pviiiiii
		.amdhsa_group_segment_fixed_size 0
		.amdhsa_private_segment_fixed_size 0
		.amdhsa_kernarg_size 312
		.amdhsa_user_sgpr_count 2
		.amdhsa_user_sgpr_dispatch_ptr 0
		.amdhsa_user_sgpr_queue_ptr 0
		.amdhsa_user_sgpr_kernarg_segment_ptr 1
		.amdhsa_user_sgpr_dispatch_id 0
		.amdhsa_user_sgpr_kernarg_preload_length 0
		.amdhsa_user_sgpr_kernarg_preload_offset 0
		.amdhsa_user_sgpr_private_segment_size 0
		.amdhsa_wavefront_size32 1
		.amdhsa_uses_dynamic_stack 0
		.amdhsa_enable_private_segment 0
		.amdhsa_system_sgpr_workgroup_id_x 1
		.amdhsa_system_sgpr_workgroup_id_y 0
		.amdhsa_system_sgpr_workgroup_id_z 0
		.amdhsa_system_sgpr_workgroup_info 0
		.amdhsa_system_vgpr_workitem_id 0
		.amdhsa_next_free_vgpr 33
		.amdhsa_next_free_sgpr 18
		.amdhsa_named_barrier_count 0
		.amdhsa_reserve_vcc 1
		.amdhsa_float_round_mode_32 0
		.amdhsa_float_round_mode_16_64 0
		.amdhsa_float_denorm_mode_32 3
		.amdhsa_float_denorm_mode_16_64 3
		.amdhsa_fp16_overflow 0
		.amdhsa_memory_ordered 1
		.amdhsa_forward_progress 1
		.amdhsa_inst_pref_size 43
		.amdhsa_round_robin_scheduling 0
		.amdhsa_exception_fp_ieee_invalid_op 0
		.amdhsa_exception_fp_denorm_src 0
		.amdhsa_exception_fp_ieee_div_zero 0
		.amdhsa_exception_fp_ieee_overflow 0
		.amdhsa_exception_fp_ieee_underflow 0
		.amdhsa_exception_fp_ieee_inexact 0
		.amdhsa_exception_int_div_zero 0
	.end_amdhsa_kernel
	.section	.text._ZN2at6native30tinygemm_m16n8k16_chunk_kernelINS0_10ALayout_RMILNS0_14KReductionTypeE0EEENS0_15BLayout_TC_int4ILi4ELi32EEES4_Li8ELi8EEEvPKvS8_S8_Pviiiiii,"axG",@progbits,_ZN2at6native30tinygemm_m16n8k16_chunk_kernelINS0_10ALayout_RMILNS0_14KReductionTypeE0EEENS0_15BLayout_TC_int4ILi4ELi32EEES4_Li8ELi8EEEvPKvS8_S8_Pviiiiii,comdat
.Lfunc_end1:
	.size	_ZN2at6native30tinygemm_m16n8k16_chunk_kernelINS0_10ALayout_RMILNS0_14KReductionTypeE0EEENS0_15BLayout_TC_int4ILi4ELi32EEES4_Li8ELi8EEEvPKvS8_S8_Pviiiiii, .Lfunc_end1-_ZN2at6native30tinygemm_m16n8k16_chunk_kernelINS0_10ALayout_RMILNS0_14KReductionTypeE0EEENS0_15BLayout_TC_int4ILi4ELi32EEES4_Li8ELi8EEEvPKvS8_S8_Pviiiiii
                                        ; -- End function
	.set _ZN2at6native30tinygemm_m16n8k16_chunk_kernelINS0_10ALayout_RMILNS0_14KReductionTypeE0EEENS0_15BLayout_TC_int4ILi4ELi32EEES4_Li8ELi8EEEvPKvS8_S8_Pviiiiii.num_vgpr, 33
	.set _ZN2at6native30tinygemm_m16n8k16_chunk_kernelINS0_10ALayout_RMILNS0_14KReductionTypeE0EEENS0_15BLayout_TC_int4ILi4ELi32EEES4_Li8ELi8EEEvPKvS8_S8_Pviiiiii.num_agpr, 0
	.set _ZN2at6native30tinygemm_m16n8k16_chunk_kernelINS0_10ALayout_RMILNS0_14KReductionTypeE0EEENS0_15BLayout_TC_int4ILi4ELi32EEES4_Li8ELi8EEEvPKvS8_S8_Pviiiiii.numbered_sgpr, 18
	.set _ZN2at6native30tinygemm_m16n8k16_chunk_kernelINS0_10ALayout_RMILNS0_14KReductionTypeE0EEENS0_15BLayout_TC_int4ILi4ELi32EEES4_Li8ELi8EEEvPKvS8_S8_Pviiiiii.num_named_barrier, 0
	.set _ZN2at6native30tinygemm_m16n8k16_chunk_kernelINS0_10ALayout_RMILNS0_14KReductionTypeE0EEENS0_15BLayout_TC_int4ILi4ELi32EEES4_Li8ELi8EEEvPKvS8_S8_Pviiiiii.private_seg_size, 0
	.set _ZN2at6native30tinygemm_m16n8k16_chunk_kernelINS0_10ALayout_RMILNS0_14KReductionTypeE0EEENS0_15BLayout_TC_int4ILi4ELi32EEES4_Li8ELi8EEEvPKvS8_S8_Pviiiiii.uses_vcc, 1
	.set _ZN2at6native30tinygemm_m16n8k16_chunk_kernelINS0_10ALayout_RMILNS0_14KReductionTypeE0EEENS0_15BLayout_TC_int4ILi4ELi32EEES4_Li8ELi8EEEvPKvS8_S8_Pviiiiii.uses_flat_scratch, 0
	.set _ZN2at6native30tinygemm_m16n8k16_chunk_kernelINS0_10ALayout_RMILNS0_14KReductionTypeE0EEENS0_15BLayout_TC_int4ILi4ELi32EEES4_Li8ELi8EEEvPKvS8_S8_Pviiiiii.has_dyn_sized_stack, 0
	.set _ZN2at6native30tinygemm_m16n8k16_chunk_kernelINS0_10ALayout_RMILNS0_14KReductionTypeE0EEENS0_15BLayout_TC_int4ILi4ELi32EEES4_Li8ELi8EEEvPKvS8_S8_Pviiiiii.has_recursion, 0
	.set _ZN2at6native30tinygemm_m16n8k16_chunk_kernelINS0_10ALayout_RMILNS0_14KReductionTypeE0EEENS0_15BLayout_TC_int4ILi4ELi32EEES4_Li8ELi8EEEvPKvS8_S8_Pviiiiii.has_indirect_call, 0
	.section	.AMDGPU.csdata,"",@progbits
; Kernel info:
; codeLenInByte = 5440
; TotalNumSgprs: 20
; NumVgprs: 33
; ScratchSize: 0
; MemoryBound: 0
; FloatMode: 240
; IeeeMode: 1
; LDSByteSize: 0 bytes/workgroup (compile time only)
; SGPRBlocks: 0
; VGPRBlocks: 2
; NumSGPRsForWavesPerEU: 20
; NumVGPRsForWavesPerEU: 33
; NamedBarCnt: 0
; Occupancy: 16
; WaveLimiterHint : 1
; COMPUTE_PGM_RSRC2:SCRATCH_EN: 0
; COMPUTE_PGM_RSRC2:USER_SGPR: 2
; COMPUTE_PGM_RSRC2:TRAP_HANDLER: 0
; COMPUTE_PGM_RSRC2:TGID_X_EN: 1
; COMPUTE_PGM_RSRC2:TGID_Y_EN: 0
; COMPUTE_PGM_RSRC2:TGID_Z_EN: 0
; COMPUTE_PGM_RSRC2:TIDIG_COMP_CNT: 0
	.section	.text._ZN2at6native30tinygemm_m16n8k16_chunk_kernelINS0_10ALayout_RMILNS0_14KReductionTypeE0EEENS0_15BLayout_TC_int4ILi8ELi32EEES4_Li8ELi8EEEvPKvS8_S8_Pviiiiii,"axG",@progbits,_ZN2at6native30tinygemm_m16n8k16_chunk_kernelINS0_10ALayout_RMILNS0_14KReductionTypeE0EEENS0_15BLayout_TC_int4ILi8ELi32EEES4_Li8ELi8EEEvPKvS8_S8_Pviiiiii,comdat
	.protected	_ZN2at6native30tinygemm_m16n8k16_chunk_kernelINS0_10ALayout_RMILNS0_14KReductionTypeE0EEENS0_15BLayout_TC_int4ILi8ELi32EEES4_Li8ELi8EEEvPKvS8_S8_Pviiiiii ; -- Begin function _ZN2at6native30tinygemm_m16n8k16_chunk_kernelINS0_10ALayout_RMILNS0_14KReductionTypeE0EEENS0_15BLayout_TC_int4ILi8ELi32EEES4_Li8ELi8EEEvPKvS8_S8_Pviiiiii
	.globl	_ZN2at6native30tinygemm_m16n8k16_chunk_kernelINS0_10ALayout_RMILNS0_14KReductionTypeE0EEENS0_15BLayout_TC_int4ILi8ELi32EEES4_Li8ELi8EEEvPKvS8_S8_Pviiiiii
	.p2align	8
	.type	_ZN2at6native30tinygemm_m16n8k16_chunk_kernelINS0_10ALayout_RMILNS0_14KReductionTypeE0EEENS0_15BLayout_TC_int4ILi8ELi32EEES4_Li8ELi8EEEvPKvS8_S8_Pviiiiii,@function
_ZN2at6native30tinygemm_m16n8k16_chunk_kernelINS0_10ALayout_RMILNS0_14KReductionTypeE0EEENS0_15BLayout_TC_int4ILi8ELi32EEES4_Li8ELi8EEEvPKvS8_S8_Pviiiiii: ; @_ZN2at6native30tinygemm_m16n8k16_chunk_kernelINS0_10ALayout_RMILNS0_14KReductionTypeE0EEENS0_15BLayout_TC_int4ILi8ELi32EEES4_Li8ELi8EEEvPKvS8_S8_Pviiiiii
; %bb.0:
	s_load_b64 s[2:3], s[0:1], 0x88
	v_mbcnt_lo_u32_b32 v32, -1, 0
	v_mov_b64_e32 v[2:3], 0
	s_wait_xcnt 0x0
	s_delay_alu instid0(VALU_DEP_2) | instskip(NEXT) | instid1(VALU_DEP_1)
	v_readfirstlane_b32 s0, v32
	v_cmp_eq_u32_e64 s0, s0, v32
	s_and_saveexec_b32 s1, s0
	s_cbranch_execz .LBB2_6
; %bb.1:
	v_mov_b32_e32 v0, 0
	s_mov_b32 s4, exec_lo
	s_wait_kmcnt 0x0
	global_load_b64 v[4:5], v0, s[2:3] offset:24 scope:SCOPE_SYS
	s_wait_loadcnt 0x0
	global_inv scope:SCOPE_SYS
	s_clause 0x1
	global_load_b64 v[2:3], v0, s[2:3] offset:40
	global_load_b64 v[6:7], v0, s[2:3]
	s_wait_loadcnt 0x1
	v_and_b32_e32 v2, v2, v4
	v_and_b32_e32 v3, v3, v5
	s_delay_alu instid0(VALU_DEP_1) | instskip(SKIP_1) | instid1(VALU_DEP_1)
	v_mul_u64_e32 v[2:3], 24, v[2:3]
	s_wait_loadcnt 0x0
	v_add_nc_u64_e32 v[2:3], v[6:7], v[2:3]
	global_load_b64 v[2:3], v[2:3], off scope:SCOPE_SYS
	s_wait_xcnt 0x0
	s_wait_loadcnt 0x0
	global_atomic_cmpswap_b64 v[2:3], v0, v[2:5], s[2:3] offset:24 th:TH_ATOMIC_RETURN scope:SCOPE_SYS
	s_wait_loadcnt 0x0
	global_inv scope:SCOPE_SYS
	s_wait_xcnt 0x0
	v_cmpx_ne_u64_e64 v[2:3], v[4:5]
	s_cbranch_execz .LBB2_5
; %bb.2:
	s_mov_b32 s5, 0
.LBB2_3:                                ; =>This Inner Loop Header: Depth=1
	s_sleep 1
	s_clause 0x1
	global_load_b64 v[6:7], v0, s[2:3] offset:40
	global_load_b64 v[8:9], v0, s[2:3]
	v_mov_b64_e32 v[4:5], v[2:3]
	s_wait_loadcnt 0x1
	s_delay_alu instid0(VALU_DEP_1) | instskip(SKIP_1) | instid1(VALU_DEP_1)
	v_and_b32_e32 v1, v6, v4
	s_wait_loadcnt 0x0
	v_mad_nc_u64_u32 v[2:3], v1, 24, v[8:9]
	s_delay_alu instid0(VALU_DEP_3) | instskip(NEXT) | instid1(VALU_DEP_1)
	v_and_b32_e32 v1, v7, v5
	v_mad_u32 v3, v1, 24, v3
	global_load_b64 v[2:3], v[2:3], off scope:SCOPE_SYS
	s_wait_xcnt 0x0
	s_wait_loadcnt 0x0
	global_atomic_cmpswap_b64 v[2:3], v0, v[2:5], s[2:3] offset:24 th:TH_ATOMIC_RETURN scope:SCOPE_SYS
	s_wait_loadcnt 0x0
	global_inv scope:SCOPE_SYS
	v_cmp_eq_u64_e32 vcc_lo, v[2:3], v[4:5]
	s_or_b32 s5, vcc_lo, s5
	s_wait_xcnt 0x0
	s_and_not1_b32 exec_lo, exec_lo, s5
	s_cbranch_execnz .LBB2_3
; %bb.4:
	s_or_b32 exec_lo, exec_lo, s5
.LBB2_5:
	s_delay_alu instid0(SALU_CYCLE_1)
	s_or_b32 exec_lo, exec_lo, s4
.LBB2_6:
	s_delay_alu instid0(SALU_CYCLE_1)
	s_or_b32 exec_lo, exec_lo, s1
	v_readfirstlane_b32 s4, v2
	v_mov_b32_e32 v1, 0
	v_readfirstlane_b32 s5, v3
	s_mov_b32 s1, exec_lo
	s_wait_kmcnt 0x0
	s_clause 0x1
	global_load_b64 v[8:9], v1, s[2:3] offset:40
	global_load_b128 v[4:7], v1, s[2:3]
	s_wait_loadcnt 0x1
	v_and_b32_e32 v10, s4, v8
	v_and_b32_e32 v11, s5, v9
	s_delay_alu instid0(VALU_DEP_1) | instskip(SKIP_1) | instid1(VALU_DEP_1)
	v_mul_u64_e32 v[2:3], 24, v[10:11]
	s_wait_loadcnt 0x0
	v_add_nc_u64_e32 v[8:9], v[4:5], v[2:3]
	s_and_saveexec_b32 s6, s0
	s_cbranch_execz .LBB2_8
; %bb.7:
	v_mov_b64_e32 v[2:3], 0x100000002
	v_mov_b32_e32 v0, s1
	global_store_b128 v[8:9], v[0:3], off offset:8
.LBB2_8:
	s_wait_xcnt 0x0
	s_or_b32 exec_lo, exec_lo, s6
	v_lshlrev_b64_e32 v[2:3], 12, v[10:11]
	s_mov_b32 s8, 0
	v_dual_lshlrev_b32 v0, 6, v32 :: v_dual_mov_b32 v10, 33
	s_mov_b32 s10, s8
	s_mov_b32 s11, s8
	;; [unrolled: 1-line block ×3, first 2 shown]
	s_delay_alu instid0(VALU_DEP_2)
	v_add_nc_u64_e32 v[6:7], v[6:7], v[2:3]
	v_mov_b64_e32 v[16:17], s[10:11]
	v_mov_b64_e32 v[14:15], s[8:9]
	v_dual_mov_b32 v11, v1 :: v_dual_mov_b32 v12, v1
	v_mov_b32_e32 v13, v1
	v_readfirstlane_b32 s6, v6
	v_readfirstlane_b32 s7, v7
	s_clause 0x3
	global_store_b128 v0, v[10:13], s[6:7]
	global_store_b128 v0, v[14:17], s[6:7] offset:16
	global_store_b128 v0, v[14:17], s[6:7] offset:32
	;; [unrolled: 1-line block ×3, first 2 shown]
	s_wait_xcnt 0x0
	s_and_saveexec_b32 s1, s0
	s_cbranch_execz .LBB2_16
; %bb.9:
	v_dual_mov_b32 v12, 0 :: v_dual_mov_b32 v15, s5
	s_mov_b32 s6, exec_lo
	s_clause 0x1
	global_load_b64 v[16:17], v12, s[2:3] offset:32 scope:SCOPE_SYS
	global_load_b64 v[2:3], v12, s[2:3] offset:40
	s_wait_loadcnt 0x0
	v_dual_mov_b32 v14, s4 :: v_dual_bitop2_b32 v3, s5, v3 bitop3:0x40
	v_and_b32_e32 v2, s4, v2
	s_delay_alu instid0(VALU_DEP_1) | instskip(NEXT) | instid1(VALU_DEP_1)
	v_mul_u64_e32 v[2:3], 24, v[2:3]
	v_add_nc_u64_e32 v[10:11], v[4:5], v[2:3]
	global_store_b64 v[10:11], v[16:17], off
	global_wb scope:SCOPE_SYS
	s_wait_storecnt 0x0
	s_wait_xcnt 0x0
	global_atomic_cmpswap_b64 v[4:5], v12, v[14:17], s[2:3] offset:32 th:TH_ATOMIC_RETURN scope:SCOPE_SYS
	s_wait_loadcnt 0x0
	v_cmpx_ne_u64_e64 v[4:5], v[16:17]
	s_cbranch_execz .LBB2_12
; %bb.10:
	s_mov_b32 s7, 0
.LBB2_11:                               ; =>This Inner Loop Header: Depth=1
	v_dual_mov_b32 v2, s4 :: v_dual_mov_b32 v3, s5
	s_sleep 1
	global_store_b64 v[10:11], v[4:5], off
	global_wb scope:SCOPE_SYS
	s_wait_storecnt 0x0
	s_wait_xcnt 0x0
	global_atomic_cmpswap_b64 v[2:3], v12, v[2:5], s[2:3] offset:32 th:TH_ATOMIC_RETURN scope:SCOPE_SYS
	s_wait_loadcnt 0x0
	v_cmp_eq_u64_e32 vcc_lo, v[2:3], v[4:5]
	v_mov_b64_e32 v[4:5], v[2:3]
	s_or_b32 s7, vcc_lo, s7
	s_delay_alu instid0(SALU_CYCLE_1)
	s_and_not1_b32 exec_lo, exec_lo, s7
	s_cbranch_execnz .LBB2_11
.LBB2_12:
	s_or_b32 exec_lo, exec_lo, s6
	v_mov_b32_e32 v5, 0
	s_mov_b32 s7, exec_lo
	s_mov_b32 s6, exec_lo
	v_mbcnt_lo_u32_b32 v4, s7, 0
	global_load_b64 v[2:3], v5, s[2:3] offset:16
	s_wait_xcnt 0x0
	v_cmpx_eq_u32_e32 0, v4
	s_cbranch_execz .LBB2_14
; %bb.13:
	s_bcnt1_i32_b32 s7, s7
	s_delay_alu instid0(SALU_CYCLE_1)
	v_mov_b32_e32 v4, s7
	global_wb scope:SCOPE_SYS
	s_wait_loadcnt 0x0
	s_wait_storecnt 0x0
	global_atomic_add_u64 v[2:3], v[4:5], off offset:8 scope:SCOPE_SYS
.LBB2_14:
	s_wait_xcnt 0x0
	s_or_b32 exec_lo, exec_lo, s6
	s_wait_loadcnt 0x0
	global_load_b64 v[4:5], v[2:3], off offset:16
	s_wait_loadcnt 0x0
	v_cmp_eq_u64_e32 vcc_lo, 0, v[4:5]
	s_cbranch_vccnz .LBB2_16
; %bb.15:
	global_load_b32 v2, v[2:3], off offset:24
	s_wait_xcnt 0x0
	v_mov_b32_e32 v3, 0
	s_wait_loadcnt 0x0
	v_readfirstlane_b32 s6, v2
	global_wb scope:SCOPE_SYS
	s_wait_storecnt 0x0
	global_store_b64 v[4:5], v[2:3], off scope:SCOPE_SYS
	s_and_b32 m0, s6, 0xffffff
	s_sendmsg sendmsg(MSG_INTERRUPT)
.LBB2_16:
	s_wait_xcnt 0x0
	s_or_b32 exec_lo, exec_lo, s1
	v_add_nc_u64_e32 v[2:3], v[6:7], v[0:1]
	s_branch .LBB2_20
.LBB2_17:                               ;   in Loop: Header=BB2_20 Depth=1
	s_wait_xcnt 0x0
	s_or_b32 exec_lo, exec_lo, s1
	s_delay_alu instid0(VALU_DEP_1)
	v_readfirstlane_b32 s1, v1
	s_cmp_eq_u32 s1, 0
	s_cbranch_scc1 .LBB2_19
; %bb.18:                               ;   in Loop: Header=BB2_20 Depth=1
	s_sleep 1
	s_cbranch_execnz .LBB2_20
	s_branch .LBB2_22
.LBB2_19:
	s_branch .LBB2_22
.LBB2_20:                               ; =>This Inner Loop Header: Depth=1
	v_mov_b32_e32 v1, 1
	s_and_saveexec_b32 s1, s0
	s_cbranch_execz .LBB2_17
; %bb.21:                               ;   in Loop: Header=BB2_20 Depth=1
	global_load_b32 v1, v[8:9], off offset:20 scope:SCOPE_SYS
	s_wait_loadcnt 0x0
	global_inv scope:SCOPE_SYS
	v_and_b32_e32 v1, 1, v1
	s_branch .LBB2_17
.LBB2_22:
	global_load_b64 v[2:3], v[2:3], off
	s_wait_xcnt 0x0
	s_and_saveexec_b32 s6, s0
	s_cbranch_execz .LBB2_26
; %bb.23:
	v_mov_b32_e32 v1, 0
	s_clause 0x2
	global_load_b64 v[4:5], v1, s[2:3] offset:40
	global_load_b64 v[12:13], v1, s[2:3] offset:24 scope:SCOPE_SYS
	global_load_b64 v[6:7], v1, s[2:3]
	s_wait_loadcnt 0x2
	v_readfirstlane_b32 s8, v4
	v_readfirstlane_b32 s9, v5
	s_add_nc_u64 s[0:1], s[8:9], 1
	s_delay_alu instid0(SALU_CYCLE_1) | instskip(NEXT) | instid1(SALU_CYCLE_1)
	s_add_nc_u64 s[4:5], s[0:1], s[4:5]
	s_cmp_eq_u64 s[4:5], 0
	s_cselect_b32 s1, s1, s5
	s_cselect_b32 s0, s0, s4
	v_mov_b32_e32 v11, s1
	s_and_b64 s[4:5], s[0:1], s[8:9]
	v_mov_b32_e32 v10, s0
	s_mul_u64 s[4:5], s[4:5], 24
	s_wait_loadcnt 0x0
	v_add_nc_u64_e32 v[8:9], s[4:5], v[6:7]
	global_store_b64 v[8:9], v[12:13], off
	global_wb scope:SCOPE_SYS
	s_wait_storecnt 0x0
	s_wait_xcnt 0x0
	global_atomic_cmpswap_b64 v[6:7], v1, v[10:13], s[2:3] offset:24 th:TH_ATOMIC_RETURN scope:SCOPE_SYS
	s_wait_loadcnt 0x0
	v_cmp_ne_u64_e32 vcc_lo, v[6:7], v[12:13]
	s_and_b32 exec_lo, exec_lo, vcc_lo
	s_cbranch_execz .LBB2_26
; %bb.24:
	s_mov_b32 s4, 0
.LBB2_25:                               ; =>This Inner Loop Header: Depth=1
	v_dual_mov_b32 v4, s0 :: v_dual_mov_b32 v5, s1
	s_sleep 1
	global_store_b64 v[8:9], v[6:7], off
	global_wb scope:SCOPE_SYS
	s_wait_storecnt 0x0
	s_wait_xcnt 0x0
	global_atomic_cmpswap_b64 v[4:5], v1, v[4:7], s[2:3] offset:24 th:TH_ATOMIC_RETURN scope:SCOPE_SYS
	s_wait_loadcnt 0x0
	v_cmp_eq_u64_e32 vcc_lo, v[4:5], v[6:7]
	v_mov_b64_e32 v[6:7], v[4:5]
	s_or_b32 s4, vcc_lo, s4
	s_delay_alu instid0(SALU_CYCLE_1)
	s_and_not1_b32 exec_lo, exec_lo, s4
	s_cbranch_execnz .LBB2_25
.LBB2_26:
	s_or_b32 exec_lo, exec_lo, s6
	s_get_pc_i64 s[4:5]
	s_add_nc_u64 s[4:5], s[4:5], .str@rel64+4
	s_mov_b64 s[6:7], 0
	s_cmp_lg_u64 s[4:5], 0
	s_cselect_b32 s8, -1, 0
	s_cmp_eq_u64 s[4:5], 0
	s_cbranch_scc1 .LBB2_30
; %bb.27:
	s_get_pc_i64 s[0:1]
	s_add_nc_u64 s[0:1], s[0:1], .str@rel64+3
.LBB2_28:                               ; =>This Inner Loop Header: Depth=1
	s_load_u8 s6, s[0:1], 0x1
	s_wait_xcnt 0x0
	s_add_nc_u64 s[0:1], s[0:1], 1
	s_wait_kmcnt 0x0
	s_cmp_lg_u32 s6, 0
	s_cbranch_scc1 .LBB2_28
; %bb.29:
	s_get_pc_i64 s[6:7]
	s_add_nc_u64 s[6:7], s[6:7], .str@rel64+4
	s_delay_alu instid0(SALU_CYCLE_1) | instskip(NEXT) | instid1(SALU_CYCLE_1)
	s_sub_nc_u64 s[0:1], s[0:1], s[6:7]
	s_add_nc_u64 s[6:7], s[0:1], 1
.LBB2_30:
	s_and_b32 vcc_lo, exec_lo, s8
	s_cbranch_vccz .LBB2_109
; %bb.31:
	v_mov_b64_e32 v[6:7], 0x100000002
	s_wait_loadcnt 0x0
	v_dual_mov_b32 v9, v3 :: v_dual_bitop2_b32 v8, -3, v2 bitop3:0x40
	v_mov_b32_e32 v5, 0
	s_branch .LBB2_33
.LBB2_32:                               ;   in Loop: Header=BB2_33 Depth=1
	s_or_b32 exec_lo, exec_lo, s12
	s_sub_nc_u64 s[6:7], s[6:7], s[8:9]
	s_add_nc_u64 s[4:5], s[4:5], s[8:9]
	s_cmp_lg_u64 s[6:7], 0
	s_cbranch_scc0 .LBB2_108
.LBB2_33:                               ; =>This Loop Header: Depth=1
                                        ;     Child Loop BB2_36 Depth 2
                                        ;     Child Loop BB2_43 Depth 2
	;; [unrolled: 1-line block ×11, first 2 shown]
	s_wait_loadcnt 0x0
	v_min_u64 v[10:11], s[6:7], 56
	v_cmp_gt_u64_e64 s0, s[6:7], 7
	s_and_b32 vcc_lo, exec_lo, s0
	v_readfirstlane_b32 s8, v10
	v_readfirstlane_b32 s9, v11
	s_cbranch_vccnz .LBB2_38
; %bb.34:                               ;   in Loop: Header=BB2_33 Depth=1
	v_mov_b64_e32 v[10:11], 0
	s_cmp_eq_u64 s[6:7], 0
	s_cbranch_scc1 .LBB2_37
; %bb.35:                               ;   in Loop: Header=BB2_33 Depth=1
	s_mov_b64 s[0:1], 0
	s_mov_b64 s[10:11], 0
.LBB2_36:                               ;   Parent Loop BB2_33 Depth=1
                                        ; =>  This Inner Loop Header: Depth=2
	s_wait_xcnt 0x0
	s_add_nc_u64 s[12:13], s[4:5], s[10:11]
	s_add_nc_u64 s[10:11], s[10:11], 1
	global_load_u8 v1, v5, s[12:13]
	s_cmp_lg_u32 s8, s10
	s_wait_loadcnt 0x0
	v_and_b32_e32 v4, 0xffff, v1
	s_delay_alu instid0(VALU_DEP_1) | instskip(SKIP_1) | instid1(VALU_DEP_1)
	v_lshlrev_b64_e32 v[12:13], s0, v[4:5]
	s_add_nc_u64 s[0:1], s[0:1], 8
	v_or_b32_e32 v10, v12, v10
	s_delay_alu instid0(VALU_DEP_2)
	v_or_b32_e32 v11, v13, v11
	s_cbranch_scc1 .LBB2_36
.LBB2_37:                               ;   in Loop: Header=BB2_33 Depth=1
	s_mov_b64 s[10:11], s[4:5]
	s_mov_b32 s14, 0
	s_cbranch_execz .LBB2_39
	s_branch .LBB2_40
.LBB2_38:                               ;   in Loop: Header=BB2_33 Depth=1
	s_add_nc_u64 s[10:11], s[4:5], 8
	s_mov_b32 s14, 0
.LBB2_39:                               ;   in Loop: Header=BB2_33 Depth=1
	global_load_b64 v[10:11], v5, s[4:5]
	s_add_co_i32 s14, s8, -8
.LBB2_40:                               ;   in Loop: Header=BB2_33 Depth=1
	s_delay_alu instid0(SALU_CYCLE_1)
	s_cmp_gt_u32 s14, 7
	s_cbranch_scc1 .LBB2_45
; %bb.41:                               ;   in Loop: Header=BB2_33 Depth=1
	v_mov_b64_e32 v[12:13], 0
	s_cmp_eq_u32 s14, 0
	s_cbranch_scc1 .LBB2_44
; %bb.42:                               ;   in Loop: Header=BB2_33 Depth=1
	s_mov_b64 s[0:1], 0
	s_wait_xcnt 0x0
	s_mov_b64 s[12:13], 0
.LBB2_43:                               ;   Parent Loop BB2_33 Depth=1
                                        ; =>  This Inner Loop Header: Depth=2
	s_wait_xcnt 0x0
	s_add_nc_u64 s[16:17], s[10:11], s[12:13]
	s_add_nc_u64 s[12:13], s[12:13], 1
	global_load_u8 v1, v5, s[16:17]
	s_cmp_lg_u32 s14, s12
	s_wait_loadcnt 0x0
	v_and_b32_e32 v4, 0xffff, v1
	s_delay_alu instid0(VALU_DEP_1) | instskip(SKIP_1) | instid1(VALU_DEP_1)
	v_lshlrev_b64_e32 v[14:15], s0, v[4:5]
	s_add_nc_u64 s[0:1], s[0:1], 8
	v_or_b32_e32 v12, v14, v12
	s_delay_alu instid0(VALU_DEP_2)
	v_or_b32_e32 v13, v15, v13
	s_cbranch_scc1 .LBB2_43
.LBB2_44:                               ;   in Loop: Header=BB2_33 Depth=1
	s_wait_xcnt 0x0
	s_mov_b64 s[0:1], s[10:11]
	s_mov_b32 s15, 0
	s_cbranch_execz .LBB2_46
	s_branch .LBB2_47
.LBB2_45:                               ;   in Loop: Header=BB2_33 Depth=1
	s_add_nc_u64 s[0:1], s[10:11], 8
	s_wait_xcnt 0x0
                                        ; implicit-def: $vgpr12_vgpr13
	s_mov_b32 s15, 0
.LBB2_46:                               ;   in Loop: Header=BB2_33 Depth=1
	global_load_b64 v[12:13], v5, s[10:11]
	s_add_co_i32 s15, s14, -8
.LBB2_47:                               ;   in Loop: Header=BB2_33 Depth=1
	s_delay_alu instid0(SALU_CYCLE_1)
	s_cmp_gt_u32 s15, 7
	s_cbranch_scc1 .LBB2_52
; %bb.48:                               ;   in Loop: Header=BB2_33 Depth=1
	v_mov_b64_e32 v[14:15], 0
	s_cmp_eq_u32 s15, 0
	s_cbranch_scc1 .LBB2_51
; %bb.49:                               ;   in Loop: Header=BB2_33 Depth=1
	s_wait_xcnt 0x0
	s_mov_b64 s[10:11], 0
	s_mov_b64 s[12:13], 0
.LBB2_50:                               ;   Parent Loop BB2_33 Depth=1
                                        ; =>  This Inner Loop Header: Depth=2
	s_wait_xcnt 0x0
	s_add_nc_u64 s[16:17], s[0:1], s[12:13]
	s_add_nc_u64 s[12:13], s[12:13], 1
	global_load_u8 v1, v5, s[16:17]
	s_cmp_lg_u32 s15, s12
	s_wait_loadcnt 0x0
	v_and_b32_e32 v4, 0xffff, v1
	s_delay_alu instid0(VALU_DEP_1) | instskip(SKIP_1) | instid1(VALU_DEP_1)
	v_lshlrev_b64_e32 v[16:17], s10, v[4:5]
	s_add_nc_u64 s[10:11], s[10:11], 8
	v_or_b32_e32 v14, v16, v14
	s_delay_alu instid0(VALU_DEP_2)
	v_or_b32_e32 v15, v17, v15
	s_cbranch_scc1 .LBB2_50
.LBB2_51:                               ;   in Loop: Header=BB2_33 Depth=1
	s_wait_xcnt 0x0
	s_mov_b64 s[10:11], s[0:1]
	s_mov_b32 s14, 0
	s_cbranch_execz .LBB2_53
	s_branch .LBB2_54
.LBB2_52:                               ;   in Loop: Header=BB2_33 Depth=1
	s_wait_xcnt 0x0
	s_add_nc_u64 s[10:11], s[0:1], 8
	s_mov_b32 s14, 0
.LBB2_53:                               ;   in Loop: Header=BB2_33 Depth=1
	global_load_b64 v[14:15], v5, s[0:1]
	s_add_co_i32 s14, s15, -8
.LBB2_54:                               ;   in Loop: Header=BB2_33 Depth=1
	s_delay_alu instid0(SALU_CYCLE_1)
	s_cmp_gt_u32 s14, 7
	s_cbranch_scc1 .LBB2_59
; %bb.55:                               ;   in Loop: Header=BB2_33 Depth=1
	v_mov_b64_e32 v[16:17], 0
	s_cmp_eq_u32 s14, 0
	s_cbranch_scc1 .LBB2_58
; %bb.56:                               ;   in Loop: Header=BB2_33 Depth=1
	s_wait_xcnt 0x0
	s_mov_b64 s[0:1], 0
	s_mov_b64 s[12:13], 0
.LBB2_57:                               ;   Parent Loop BB2_33 Depth=1
                                        ; =>  This Inner Loop Header: Depth=2
	s_wait_xcnt 0x0
	s_add_nc_u64 s[16:17], s[10:11], s[12:13]
	s_add_nc_u64 s[12:13], s[12:13], 1
	global_load_u8 v1, v5, s[16:17]
	s_cmp_lg_u32 s14, s12
	s_wait_loadcnt 0x0
	v_and_b32_e32 v4, 0xffff, v1
	s_delay_alu instid0(VALU_DEP_1) | instskip(SKIP_1) | instid1(VALU_DEP_1)
	v_lshlrev_b64_e32 v[18:19], s0, v[4:5]
	s_add_nc_u64 s[0:1], s[0:1], 8
	v_or_b32_e32 v16, v18, v16
	s_delay_alu instid0(VALU_DEP_2)
	v_or_b32_e32 v17, v19, v17
	s_cbranch_scc1 .LBB2_57
.LBB2_58:                               ;   in Loop: Header=BB2_33 Depth=1
	s_wait_xcnt 0x0
	s_mov_b64 s[0:1], s[10:11]
	s_mov_b32 s15, 0
	s_cbranch_execz .LBB2_60
	s_branch .LBB2_61
.LBB2_59:                               ;   in Loop: Header=BB2_33 Depth=1
	s_wait_xcnt 0x0
	s_add_nc_u64 s[0:1], s[10:11], 8
                                        ; implicit-def: $vgpr16_vgpr17
	s_mov_b32 s15, 0
.LBB2_60:                               ;   in Loop: Header=BB2_33 Depth=1
	global_load_b64 v[16:17], v5, s[10:11]
	s_add_co_i32 s15, s14, -8
.LBB2_61:                               ;   in Loop: Header=BB2_33 Depth=1
	s_delay_alu instid0(SALU_CYCLE_1)
	s_cmp_gt_u32 s15, 7
	s_cbranch_scc1 .LBB2_66
; %bb.62:                               ;   in Loop: Header=BB2_33 Depth=1
	v_mov_b64_e32 v[18:19], 0
	s_cmp_eq_u32 s15, 0
	s_cbranch_scc1 .LBB2_65
; %bb.63:                               ;   in Loop: Header=BB2_33 Depth=1
	s_wait_xcnt 0x0
	s_mov_b64 s[10:11], 0
	s_mov_b64 s[12:13], 0
.LBB2_64:                               ;   Parent Loop BB2_33 Depth=1
                                        ; =>  This Inner Loop Header: Depth=2
	s_wait_xcnt 0x0
	s_add_nc_u64 s[16:17], s[0:1], s[12:13]
	s_add_nc_u64 s[12:13], s[12:13], 1
	global_load_u8 v1, v5, s[16:17]
	s_cmp_lg_u32 s15, s12
	s_wait_loadcnt 0x0
	v_and_b32_e32 v4, 0xffff, v1
	s_delay_alu instid0(VALU_DEP_1) | instskip(SKIP_1) | instid1(VALU_DEP_1)
	v_lshlrev_b64_e32 v[20:21], s10, v[4:5]
	s_add_nc_u64 s[10:11], s[10:11], 8
	v_or_b32_e32 v18, v20, v18
	s_delay_alu instid0(VALU_DEP_2)
	v_or_b32_e32 v19, v21, v19
	s_cbranch_scc1 .LBB2_64
.LBB2_65:                               ;   in Loop: Header=BB2_33 Depth=1
	s_wait_xcnt 0x0
	s_mov_b64 s[10:11], s[0:1]
	s_mov_b32 s14, 0
	s_cbranch_execz .LBB2_67
	s_branch .LBB2_68
.LBB2_66:                               ;   in Loop: Header=BB2_33 Depth=1
	s_wait_xcnt 0x0
	s_add_nc_u64 s[10:11], s[0:1], 8
	s_mov_b32 s14, 0
.LBB2_67:                               ;   in Loop: Header=BB2_33 Depth=1
	global_load_b64 v[18:19], v5, s[0:1]
	s_add_co_i32 s14, s15, -8
.LBB2_68:                               ;   in Loop: Header=BB2_33 Depth=1
	s_delay_alu instid0(SALU_CYCLE_1)
	s_cmp_gt_u32 s14, 7
	s_cbranch_scc1 .LBB2_73
; %bb.69:                               ;   in Loop: Header=BB2_33 Depth=1
	v_mov_b64_e32 v[20:21], 0
	s_cmp_eq_u32 s14, 0
	s_cbranch_scc1 .LBB2_72
; %bb.70:                               ;   in Loop: Header=BB2_33 Depth=1
	s_wait_xcnt 0x0
	s_mov_b64 s[0:1], 0
	s_mov_b64 s[12:13], 0
.LBB2_71:                               ;   Parent Loop BB2_33 Depth=1
                                        ; =>  This Inner Loop Header: Depth=2
	s_wait_xcnt 0x0
	s_add_nc_u64 s[16:17], s[10:11], s[12:13]
	s_add_nc_u64 s[12:13], s[12:13], 1
	global_load_u8 v1, v5, s[16:17]
	s_cmp_lg_u32 s14, s12
	s_wait_loadcnt 0x0
	v_and_b32_e32 v4, 0xffff, v1
	s_delay_alu instid0(VALU_DEP_1) | instskip(SKIP_1) | instid1(VALU_DEP_1)
	v_lshlrev_b64_e32 v[22:23], s0, v[4:5]
	s_add_nc_u64 s[0:1], s[0:1], 8
	v_or_b32_e32 v20, v22, v20
	s_delay_alu instid0(VALU_DEP_2)
	v_or_b32_e32 v21, v23, v21
	s_cbranch_scc1 .LBB2_71
.LBB2_72:                               ;   in Loop: Header=BB2_33 Depth=1
	s_wait_xcnt 0x0
	s_mov_b64 s[0:1], s[10:11]
	s_mov_b32 s15, 0
	s_cbranch_execz .LBB2_74
	s_branch .LBB2_75
.LBB2_73:                               ;   in Loop: Header=BB2_33 Depth=1
	s_wait_xcnt 0x0
	s_add_nc_u64 s[0:1], s[10:11], 8
                                        ; implicit-def: $vgpr20_vgpr21
	s_mov_b32 s15, 0
.LBB2_74:                               ;   in Loop: Header=BB2_33 Depth=1
	global_load_b64 v[20:21], v5, s[10:11]
	s_add_co_i32 s15, s14, -8
.LBB2_75:                               ;   in Loop: Header=BB2_33 Depth=1
	s_delay_alu instid0(SALU_CYCLE_1)
	s_cmp_gt_u32 s15, 7
	s_cbranch_scc1 .LBB2_80
; %bb.76:                               ;   in Loop: Header=BB2_33 Depth=1
	v_mov_b64_e32 v[22:23], 0
	s_cmp_eq_u32 s15, 0
	s_cbranch_scc1 .LBB2_79
; %bb.77:                               ;   in Loop: Header=BB2_33 Depth=1
	s_wait_xcnt 0x0
	s_mov_b64 s[10:11], 0
	s_mov_b64 s[12:13], s[0:1]
.LBB2_78:                               ;   Parent Loop BB2_33 Depth=1
                                        ; =>  This Inner Loop Header: Depth=2
	global_load_u8 v1, v5, s[12:13]
	s_add_co_i32 s15, s15, -1
	s_wait_xcnt 0x0
	s_add_nc_u64 s[12:13], s[12:13], 1
	s_cmp_lg_u32 s15, 0
	s_wait_loadcnt 0x0
	v_and_b32_e32 v4, 0xffff, v1
	s_delay_alu instid0(VALU_DEP_1) | instskip(SKIP_1) | instid1(VALU_DEP_1)
	v_lshlrev_b64_e32 v[24:25], s10, v[4:5]
	s_add_nc_u64 s[10:11], s[10:11], 8
	v_or_b32_e32 v22, v24, v22
	s_delay_alu instid0(VALU_DEP_2)
	v_or_b32_e32 v23, v25, v23
	s_cbranch_scc1 .LBB2_78
.LBB2_79:                               ;   in Loop: Header=BB2_33 Depth=1
	s_wait_xcnt 0x0
	s_cbranch_execz .LBB2_81
	s_branch .LBB2_82
.LBB2_80:                               ;   in Loop: Header=BB2_33 Depth=1
	s_wait_xcnt 0x0
.LBB2_81:                               ;   in Loop: Header=BB2_33 Depth=1
	global_load_b64 v[22:23], v5, s[0:1]
.LBB2_82:                               ;   in Loop: Header=BB2_33 Depth=1
	s_wait_xcnt 0x0
	v_readfirstlane_b32 s0, v32
	v_mov_b64_e32 v[28:29], 0
	s_delay_alu instid0(VALU_DEP_2)
	v_cmp_eq_u32_e64 s0, s0, v32
	s_and_saveexec_b32 s1, s0
	s_cbranch_execz .LBB2_88
; %bb.83:                               ;   in Loop: Header=BB2_33 Depth=1
	global_load_b64 v[26:27], v5, s[2:3] offset:24 scope:SCOPE_SYS
	s_wait_loadcnt 0x0
	global_inv scope:SCOPE_SYS
	s_clause 0x1
	global_load_b64 v[24:25], v5, s[2:3] offset:40
	global_load_b64 v[28:29], v5, s[2:3]
	s_mov_b32 s10, exec_lo
	s_wait_loadcnt 0x1
	v_and_b32_e32 v24, v24, v26
	v_and_b32_e32 v25, v25, v27
	s_delay_alu instid0(VALU_DEP_1) | instskip(SKIP_1) | instid1(VALU_DEP_1)
	v_mul_u64_e32 v[24:25], 24, v[24:25]
	s_wait_loadcnt 0x0
	v_add_nc_u64_e32 v[24:25], v[28:29], v[24:25]
	global_load_b64 v[24:25], v[24:25], off scope:SCOPE_SYS
	s_wait_xcnt 0x0
	s_wait_loadcnt 0x0
	global_atomic_cmpswap_b64 v[28:29], v5, v[24:27], s[2:3] offset:24 th:TH_ATOMIC_RETURN scope:SCOPE_SYS
	s_wait_loadcnt 0x0
	global_inv scope:SCOPE_SYS
	s_wait_xcnt 0x0
	v_cmpx_ne_u64_e64 v[28:29], v[26:27]
	s_cbranch_execz .LBB2_87
; %bb.84:                               ;   in Loop: Header=BB2_33 Depth=1
	s_mov_b32 s11, 0
.LBB2_85:                               ;   Parent Loop BB2_33 Depth=1
                                        ; =>  This Inner Loop Header: Depth=2
	s_sleep 1
	s_clause 0x1
	global_load_b64 v[24:25], v5, s[2:3] offset:40
	global_load_b64 v[30:31], v5, s[2:3]
	v_mov_b64_e32 v[26:27], v[28:29]
	s_wait_loadcnt 0x1
	s_delay_alu instid0(VALU_DEP_1) | instskip(SKIP_1) | instid1(VALU_DEP_1)
	v_and_b32_e32 v1, v24, v26
	s_wait_loadcnt 0x0
	v_mad_nc_u64_u32 v[28:29], v1, 24, v[30:31]
	s_delay_alu instid0(VALU_DEP_3) | instskip(NEXT) | instid1(VALU_DEP_1)
	v_and_b32_e32 v1, v25, v27
	v_mad_u32 v29, v1, 24, v29
	global_load_b64 v[24:25], v[28:29], off scope:SCOPE_SYS
	s_wait_xcnt 0x0
	s_wait_loadcnt 0x0
	global_atomic_cmpswap_b64 v[28:29], v5, v[24:27], s[2:3] offset:24 th:TH_ATOMIC_RETURN scope:SCOPE_SYS
	s_wait_loadcnt 0x0
	global_inv scope:SCOPE_SYS
	v_cmp_eq_u64_e32 vcc_lo, v[28:29], v[26:27]
	s_or_b32 s11, vcc_lo, s11
	s_wait_xcnt 0x0
	s_and_not1_b32 exec_lo, exec_lo, s11
	s_cbranch_execnz .LBB2_85
; %bb.86:                               ;   in Loop: Header=BB2_33 Depth=1
	s_or_b32 exec_lo, exec_lo, s11
.LBB2_87:                               ;   in Loop: Header=BB2_33 Depth=1
	s_delay_alu instid0(SALU_CYCLE_1)
	s_or_b32 exec_lo, exec_lo, s10
.LBB2_88:                               ;   in Loop: Header=BB2_33 Depth=1
	s_delay_alu instid0(SALU_CYCLE_1)
	s_or_b32 exec_lo, exec_lo, s1
	s_clause 0x1
	global_load_b64 v[30:31], v5, s[2:3] offset:40
	global_load_b128 v[24:27], v5, s[2:3]
	v_readfirstlane_b32 s10, v28
	v_readfirstlane_b32 s11, v29
	s_mov_b32 s1, exec_lo
	s_wait_loadcnt 0x1
	v_and_b32_e32 v30, s10, v30
	v_and_b32_e32 v31, s11, v31
	s_delay_alu instid0(VALU_DEP_1) | instskip(SKIP_1) | instid1(VALU_DEP_1)
	v_mul_u64_e32 v[28:29], 24, v[30:31]
	s_wait_loadcnt 0x0
	v_add_nc_u64_e32 v[28:29], v[24:25], v[28:29]
	s_wait_xcnt 0x0
	s_and_saveexec_b32 s12, s0
	s_cbranch_execz .LBB2_90
; %bb.89:                               ;   in Loop: Header=BB2_33 Depth=1
	v_mov_b32_e32 v4, s1
	global_store_b128 v[28:29], v[4:7], off offset:8
.LBB2_90:                               ;   in Loop: Header=BB2_33 Depth=1
	s_wait_xcnt 0x0
	s_or_b32 exec_lo, exec_lo, s12
	v_cmp_gt_u64_e64 s1, s[6:7], 56
	v_lshlrev_b64_e32 v[30:31], 12, v[30:31]
	v_and_b32_e32 v1, 0xffffff1f, v8
	s_and_b32 s1, s1, exec_lo
	s_delay_alu instid0(VALU_DEP_2) | instskip(SKIP_4) | instid1(VALU_DEP_2)
	v_add_nc_u64_e32 v[26:27], v[26:27], v[30:31]
	s_cselect_b32 s1, 0, 2
	s_lshl_b32 s12, s8, 2
	v_or_b32_e32 v1, s1, v1
	s_add_co_i32 s1, s12, 28
	v_readfirstlane_b32 s12, v26
	s_delay_alu instid0(VALU_DEP_3) | instskip(NEXT) | instid1(VALU_DEP_3)
	v_readfirstlane_b32 s13, v27
	v_and_or_b32 v8, 0x1e0, s1, v1
	s_clause 0x3
	global_store_b128 v0, v[8:11], s[12:13]
	global_store_b128 v0, v[12:15], s[12:13] offset:16
	global_store_b128 v0, v[16:19], s[12:13] offset:32
	;; [unrolled: 1-line block ×3, first 2 shown]
	s_wait_xcnt 0x0
	s_and_saveexec_b32 s1, s0
	s_cbranch_execz .LBB2_98
; %bb.91:                               ;   in Loop: Header=BB2_33 Depth=1
	s_clause 0x1
	global_load_b64 v[16:17], v5, s[2:3] offset:32 scope:SCOPE_SYS
	global_load_b64 v[8:9], v5, s[2:3] offset:40
	s_mov_b32 s12, exec_lo
	v_dual_mov_b32 v14, s10 :: v_dual_mov_b32 v15, s11
	s_wait_loadcnt 0x0
	v_and_b32_e32 v9, s11, v9
	v_and_b32_e32 v8, s10, v8
	s_delay_alu instid0(VALU_DEP_1) | instskip(NEXT) | instid1(VALU_DEP_1)
	v_mul_u64_e32 v[8:9], 24, v[8:9]
	v_add_nc_u64_e32 v[12:13], v[24:25], v[8:9]
	global_store_b64 v[12:13], v[16:17], off
	global_wb scope:SCOPE_SYS
	s_wait_storecnt 0x0
	s_wait_xcnt 0x0
	global_atomic_cmpswap_b64 v[10:11], v5, v[14:17], s[2:3] offset:32 th:TH_ATOMIC_RETURN scope:SCOPE_SYS
	s_wait_loadcnt 0x0
	v_cmpx_ne_u64_e64 v[10:11], v[16:17]
	s_cbranch_execz .LBB2_94
; %bb.92:                               ;   in Loop: Header=BB2_33 Depth=1
	s_mov_b32 s13, 0
.LBB2_93:                               ;   Parent Loop BB2_33 Depth=1
                                        ; =>  This Inner Loop Header: Depth=2
	v_dual_mov_b32 v8, s10 :: v_dual_mov_b32 v9, s11
	s_sleep 1
	global_store_b64 v[12:13], v[10:11], off
	global_wb scope:SCOPE_SYS
	s_wait_storecnt 0x0
	s_wait_xcnt 0x0
	global_atomic_cmpswap_b64 v[8:9], v5, v[8:11], s[2:3] offset:32 th:TH_ATOMIC_RETURN scope:SCOPE_SYS
	s_wait_loadcnt 0x0
	v_cmp_eq_u64_e32 vcc_lo, v[8:9], v[10:11]
	v_mov_b64_e32 v[10:11], v[8:9]
	s_or_b32 s13, vcc_lo, s13
	s_delay_alu instid0(SALU_CYCLE_1)
	s_and_not1_b32 exec_lo, exec_lo, s13
	s_cbranch_execnz .LBB2_93
.LBB2_94:                               ;   in Loop: Header=BB2_33 Depth=1
	s_or_b32 exec_lo, exec_lo, s12
	global_load_b64 v[8:9], v5, s[2:3] offset:16
	s_mov_b32 s13, exec_lo
	s_mov_b32 s12, exec_lo
	v_mbcnt_lo_u32_b32 v1, s13, 0
	s_wait_xcnt 0x0
	s_delay_alu instid0(VALU_DEP_1)
	v_cmpx_eq_u32_e32 0, v1
	s_cbranch_execz .LBB2_96
; %bb.95:                               ;   in Loop: Header=BB2_33 Depth=1
	s_bcnt1_i32_b32 s13, s13
	s_delay_alu instid0(SALU_CYCLE_1)
	v_mov_b32_e32 v4, s13
	global_wb scope:SCOPE_SYS
	s_wait_loadcnt 0x0
	s_wait_storecnt 0x0
	global_atomic_add_u64 v[8:9], v[4:5], off offset:8 scope:SCOPE_SYS
.LBB2_96:                               ;   in Loop: Header=BB2_33 Depth=1
	s_wait_xcnt 0x0
	s_or_b32 exec_lo, exec_lo, s12
	s_wait_loadcnt 0x0
	global_load_b64 v[10:11], v[8:9], off offset:16
	s_wait_loadcnt 0x0
	v_cmp_eq_u64_e32 vcc_lo, 0, v[10:11]
	s_cbranch_vccnz .LBB2_98
; %bb.97:                               ;   in Loop: Header=BB2_33 Depth=1
	global_load_b32 v4, v[8:9], off offset:24
	s_wait_loadcnt 0x0
	v_readfirstlane_b32 s12, v4
	global_wb scope:SCOPE_SYS
	s_wait_storecnt 0x0
	s_wait_xcnt 0x0
	global_store_b64 v[10:11], v[4:5], off scope:SCOPE_SYS
	s_and_b32 m0, s12, 0xffffff
	s_sendmsg sendmsg(MSG_INTERRUPT)
.LBB2_98:                               ;   in Loop: Header=BB2_33 Depth=1
	s_wait_xcnt 0x0
	s_or_b32 exec_lo, exec_lo, s1
	v_mov_b32_e32 v1, v5
	s_delay_alu instid0(VALU_DEP_1)
	v_add_nc_u64_e32 v[8:9], v[26:27], v[0:1]
	s_branch .LBB2_102
.LBB2_99:                               ;   in Loop: Header=BB2_102 Depth=2
	s_wait_xcnt 0x0
	s_or_b32 exec_lo, exec_lo, s1
	s_delay_alu instid0(VALU_DEP_1)
	v_readfirstlane_b32 s1, v1
	s_cmp_eq_u32 s1, 0
	s_cbranch_scc1 .LBB2_101
; %bb.100:                              ;   in Loop: Header=BB2_102 Depth=2
	s_sleep 1
	s_cbranch_execnz .LBB2_102
	s_branch .LBB2_104
.LBB2_101:                              ;   in Loop: Header=BB2_33 Depth=1
	s_branch .LBB2_104
.LBB2_102:                              ;   Parent Loop BB2_33 Depth=1
                                        ; =>  This Inner Loop Header: Depth=2
	v_mov_b32_e32 v1, 1
	s_and_saveexec_b32 s1, s0
	s_cbranch_execz .LBB2_99
; %bb.103:                              ;   in Loop: Header=BB2_102 Depth=2
	global_load_b32 v1, v[28:29], off offset:20 scope:SCOPE_SYS
	s_wait_loadcnt 0x0
	global_inv scope:SCOPE_SYS
	v_and_b32_e32 v1, 1, v1
	s_branch .LBB2_99
.LBB2_104:                              ;   in Loop: Header=BB2_33 Depth=1
	global_load_b128 v[8:11], v[8:9], off
	s_wait_xcnt 0x0
	s_and_saveexec_b32 s12, s0
	s_cbranch_execz .LBB2_32
; %bb.105:                              ;   in Loop: Header=BB2_33 Depth=1
	s_wait_loadcnt 0x0
	s_clause 0x2
	global_load_b64 v[10:11], v5, s[2:3] offset:40
	global_load_b64 v[18:19], v5, s[2:3] offset:24 scope:SCOPE_SYS
	global_load_b64 v[12:13], v5, s[2:3]
	s_wait_loadcnt 0x2
	v_readfirstlane_b32 s14, v10
	v_readfirstlane_b32 s15, v11
	s_add_nc_u64 s[0:1], s[14:15], 1
	s_delay_alu instid0(SALU_CYCLE_1) | instskip(NEXT) | instid1(SALU_CYCLE_1)
	s_add_nc_u64 s[10:11], s[0:1], s[10:11]
	s_cmp_eq_u64 s[10:11], 0
	s_cselect_b32 s1, s1, s11
	s_cselect_b32 s0, s0, s10
	s_delay_alu instid0(SALU_CYCLE_1) | instskip(SKIP_1) | instid1(SALU_CYCLE_1)
	v_dual_mov_b32 v17, s1 :: v_dual_mov_b32 v16, s0
	s_and_b64 s[10:11], s[0:1], s[14:15]
	s_mul_u64 s[10:11], s[10:11], 24
	s_wait_loadcnt 0x0
	v_add_nc_u64_e32 v[14:15], s[10:11], v[12:13]
	global_store_b64 v[14:15], v[18:19], off
	global_wb scope:SCOPE_SYS
	s_wait_storecnt 0x0
	s_wait_xcnt 0x0
	global_atomic_cmpswap_b64 v[12:13], v5, v[16:19], s[2:3] offset:24 th:TH_ATOMIC_RETURN scope:SCOPE_SYS
	s_wait_loadcnt 0x0
	v_cmp_ne_u64_e32 vcc_lo, v[12:13], v[18:19]
	s_and_b32 exec_lo, exec_lo, vcc_lo
	s_cbranch_execz .LBB2_32
; %bb.106:                              ;   in Loop: Header=BB2_33 Depth=1
	s_mov_b32 s10, 0
.LBB2_107:                              ;   Parent Loop BB2_33 Depth=1
                                        ; =>  This Inner Loop Header: Depth=2
	v_dual_mov_b32 v10, s0 :: v_dual_mov_b32 v11, s1
	s_sleep 1
	global_store_b64 v[14:15], v[12:13], off
	global_wb scope:SCOPE_SYS
	s_wait_storecnt 0x0
	s_wait_xcnt 0x0
	global_atomic_cmpswap_b64 v[10:11], v5, v[10:13], s[2:3] offset:24 th:TH_ATOMIC_RETURN scope:SCOPE_SYS
	s_wait_loadcnt 0x0
	v_cmp_eq_u64_e32 vcc_lo, v[10:11], v[12:13]
	v_mov_b64_e32 v[12:13], v[10:11]
	s_or_b32 s10, vcc_lo, s10
	s_delay_alu instid0(SALU_CYCLE_1)
	s_and_not1_b32 exec_lo, exec_lo, s10
	s_cbranch_execnz .LBB2_107
	s_branch .LBB2_32
.LBB2_108:
	s_branch .LBB2_136
.LBB2_109:
	s_cbranch_execz .LBB2_136
; %bb.110:
	v_readfirstlane_b32 s0, v32
	s_wait_loadcnt 0x0
	v_mov_b64_e32 v[10:11], 0
	s_delay_alu instid0(VALU_DEP_2)
	v_cmp_eq_u32_e64 s0, s0, v32
	s_and_saveexec_b32 s1, s0
	s_cbranch_execz .LBB2_116
; %bb.111:
	v_mov_b32_e32 v1, 0
	s_mov_b32 s4, exec_lo
	global_load_b64 v[6:7], v1, s[2:3] offset:24 scope:SCOPE_SYS
	s_wait_loadcnt 0x0
	global_inv scope:SCOPE_SYS
	s_clause 0x1
	global_load_b64 v[4:5], v1, s[2:3] offset:40
	global_load_b64 v[8:9], v1, s[2:3]
	s_wait_loadcnt 0x1
	v_and_b32_e32 v4, v4, v6
	v_and_b32_e32 v5, v5, v7
	s_delay_alu instid0(VALU_DEP_1) | instskip(SKIP_1) | instid1(VALU_DEP_1)
	v_mul_u64_e32 v[4:5], 24, v[4:5]
	s_wait_loadcnt 0x0
	v_add_nc_u64_e32 v[4:5], v[8:9], v[4:5]
	global_load_b64 v[4:5], v[4:5], off scope:SCOPE_SYS
	s_wait_xcnt 0x0
	s_wait_loadcnt 0x0
	global_atomic_cmpswap_b64 v[10:11], v1, v[4:7], s[2:3] offset:24 th:TH_ATOMIC_RETURN scope:SCOPE_SYS
	s_wait_loadcnt 0x0
	global_inv scope:SCOPE_SYS
	s_wait_xcnt 0x0
	v_cmpx_ne_u64_e64 v[10:11], v[6:7]
	s_cbranch_execz .LBB2_115
; %bb.112:
	s_mov_b32 s5, 0
.LBB2_113:                              ; =>This Inner Loop Header: Depth=1
	s_sleep 1
	s_clause 0x1
	global_load_b64 v[4:5], v1, s[2:3] offset:40
	global_load_b64 v[8:9], v1, s[2:3]
	v_mov_b64_e32 v[6:7], v[10:11]
	s_wait_loadcnt 0x1
	s_delay_alu instid0(VALU_DEP_1) | instskip(SKIP_1) | instid1(VALU_DEP_1)
	v_and_b32_e32 v4, v4, v6
	s_wait_loadcnt 0x0
	v_mad_nc_u64_u32 v[8:9], v4, 24, v[8:9]
	s_delay_alu instid0(VALU_DEP_3) | instskip(NEXT) | instid1(VALU_DEP_1)
	v_and_b32_e32 v4, v5, v7
	v_mad_u32 v9, v4, 24, v9
	global_load_b64 v[4:5], v[8:9], off scope:SCOPE_SYS
	s_wait_xcnt 0x0
	s_wait_loadcnt 0x0
	global_atomic_cmpswap_b64 v[10:11], v1, v[4:7], s[2:3] offset:24 th:TH_ATOMIC_RETURN scope:SCOPE_SYS
	s_wait_loadcnt 0x0
	global_inv scope:SCOPE_SYS
	v_cmp_eq_u64_e32 vcc_lo, v[10:11], v[6:7]
	s_or_b32 s5, vcc_lo, s5
	s_wait_xcnt 0x0
	s_and_not1_b32 exec_lo, exec_lo, s5
	s_cbranch_execnz .LBB2_113
; %bb.114:
	s_or_b32 exec_lo, exec_lo, s5
.LBB2_115:
	s_delay_alu instid0(SALU_CYCLE_1)
	s_or_b32 exec_lo, exec_lo, s4
.LBB2_116:
	s_delay_alu instid0(SALU_CYCLE_1)
	s_or_b32 exec_lo, exec_lo, s1
	v_readfirstlane_b32 s4, v10
	v_mov_b32_e32 v4, 0
	v_readfirstlane_b32 s5, v11
	s_mov_b32 s1, exec_lo
	s_clause 0x1
	global_load_b64 v[12:13], v4, s[2:3] offset:40
	global_load_b128 v[6:9], v4, s[2:3]
	s_wait_loadcnt 0x1
	v_and_b32_e32 v12, s4, v12
	v_and_b32_e32 v13, s5, v13
	s_delay_alu instid0(VALU_DEP_1) | instskip(SKIP_1) | instid1(VALU_DEP_1)
	v_mul_u64_e32 v[10:11], 24, v[12:13]
	s_wait_loadcnt 0x0
	v_add_nc_u64_e32 v[10:11], v[6:7], v[10:11]
	s_wait_xcnt 0x0
	s_and_saveexec_b32 s6, s0
	s_cbranch_execz .LBB2_118
; %bb.117:
	v_mov_b64_e32 v[16:17], 0x100000002
	v_dual_mov_b32 v14, s1 :: v_dual_mov_b32 v15, v4
	global_store_b128 v[10:11], v[14:17], off offset:8
.LBB2_118:
	s_wait_xcnt 0x0
	s_or_b32 exec_lo, exec_lo, s6
	v_lshlrev_b64_e32 v[12:13], 12, v[12:13]
	s_mov_b32 s8, 0
	v_and_or_b32 v2, 0xffffff1d, v2, 34
	s_mov_b32 s10, s8
	s_mov_b32 s11, s8
	;; [unrolled: 1-line block ×3, first 2 shown]
	v_mov_b32_e32 v5, v4
	v_add_nc_u64_e32 v[8:9], v[8:9], v[12:13]
	v_mov_b64_e32 v[14:15], s[10:11]
	v_mov_b64_e32 v[12:13], s[8:9]
	s_delay_alu instid0(VALU_DEP_3) | instskip(NEXT) | instid1(VALU_DEP_4)
	v_readfirstlane_b32 s6, v8
	v_readfirstlane_b32 s7, v9
	s_clause 0x3
	global_store_b128 v0, v[2:5], s[6:7]
	global_store_b128 v0, v[12:15], s[6:7] offset:16
	global_store_b128 v0, v[12:15], s[6:7] offset:32
	;; [unrolled: 1-line block ×3, first 2 shown]
	s_wait_xcnt 0x0
	s_and_saveexec_b32 s1, s0
	s_cbranch_execz .LBB2_126
; %bb.119:
	v_dual_mov_b32 v8, 0 :: v_dual_mov_b32 v13, s5
	s_mov_b32 s6, exec_lo
	s_clause 0x1
	global_load_b64 v[14:15], v8, s[2:3] offset:32 scope:SCOPE_SYS
	global_load_b64 v[0:1], v8, s[2:3] offset:40
	s_wait_loadcnt 0x0
	v_dual_mov_b32 v12, s4 :: v_dual_bitop2_b32 v1, s5, v1 bitop3:0x40
	v_and_b32_e32 v0, s4, v0
	s_delay_alu instid0(VALU_DEP_1) | instskip(NEXT) | instid1(VALU_DEP_1)
	v_mul_u64_e32 v[0:1], 24, v[0:1]
	v_add_nc_u64_e32 v[4:5], v[6:7], v[0:1]
	global_store_b64 v[4:5], v[14:15], off
	global_wb scope:SCOPE_SYS
	s_wait_storecnt 0x0
	s_wait_xcnt 0x0
	global_atomic_cmpswap_b64 v[2:3], v8, v[12:15], s[2:3] offset:32 th:TH_ATOMIC_RETURN scope:SCOPE_SYS
	s_wait_loadcnt 0x0
	v_cmpx_ne_u64_e64 v[2:3], v[14:15]
	s_cbranch_execz .LBB2_122
; %bb.120:
	s_mov_b32 s7, 0
.LBB2_121:                              ; =>This Inner Loop Header: Depth=1
	v_dual_mov_b32 v0, s4 :: v_dual_mov_b32 v1, s5
	s_sleep 1
	global_store_b64 v[4:5], v[2:3], off
	global_wb scope:SCOPE_SYS
	s_wait_storecnt 0x0
	s_wait_xcnt 0x0
	global_atomic_cmpswap_b64 v[0:1], v8, v[0:3], s[2:3] offset:32 th:TH_ATOMIC_RETURN scope:SCOPE_SYS
	s_wait_loadcnt 0x0
	v_cmp_eq_u64_e32 vcc_lo, v[0:1], v[2:3]
	v_mov_b64_e32 v[2:3], v[0:1]
	s_or_b32 s7, vcc_lo, s7
	s_delay_alu instid0(SALU_CYCLE_1)
	s_and_not1_b32 exec_lo, exec_lo, s7
	s_cbranch_execnz .LBB2_121
.LBB2_122:
	s_or_b32 exec_lo, exec_lo, s6
	v_mov_b32_e32 v3, 0
	s_mov_b32 s7, exec_lo
	s_mov_b32 s6, exec_lo
	v_mbcnt_lo_u32_b32 v2, s7, 0
	global_load_b64 v[0:1], v3, s[2:3] offset:16
	s_wait_xcnt 0x0
	v_cmpx_eq_u32_e32 0, v2
	s_cbranch_execz .LBB2_124
; %bb.123:
	s_bcnt1_i32_b32 s7, s7
	s_delay_alu instid0(SALU_CYCLE_1)
	v_mov_b32_e32 v2, s7
	global_wb scope:SCOPE_SYS
	s_wait_loadcnt 0x0
	s_wait_storecnt 0x0
	global_atomic_add_u64 v[0:1], v[2:3], off offset:8 scope:SCOPE_SYS
.LBB2_124:
	s_wait_xcnt 0x0
	s_or_b32 exec_lo, exec_lo, s6
	s_wait_loadcnt 0x0
	global_load_b64 v[2:3], v[0:1], off offset:16
	s_wait_loadcnt 0x0
	v_cmp_eq_u64_e32 vcc_lo, 0, v[2:3]
	s_cbranch_vccnz .LBB2_126
; %bb.125:
	global_load_b32 v0, v[0:1], off offset:24
	s_wait_xcnt 0x0
	v_mov_b32_e32 v1, 0
	s_wait_loadcnt 0x0
	v_readfirstlane_b32 s6, v0
	global_wb scope:SCOPE_SYS
	s_wait_storecnt 0x0
	global_store_b64 v[2:3], v[0:1], off scope:SCOPE_SYS
	s_and_b32 m0, s6, 0xffffff
	s_sendmsg sendmsg(MSG_INTERRUPT)
.LBB2_126:
	s_wait_xcnt 0x0
	s_or_b32 exec_lo, exec_lo, s1
	s_branch .LBB2_130
.LBB2_127:                              ;   in Loop: Header=BB2_130 Depth=1
	s_wait_xcnt 0x0
	s_or_b32 exec_lo, exec_lo, s1
	s_delay_alu instid0(VALU_DEP_1)
	v_readfirstlane_b32 s1, v0
	s_cmp_eq_u32 s1, 0
	s_cbranch_scc1 .LBB2_129
; %bb.128:                              ;   in Loop: Header=BB2_130 Depth=1
	s_sleep 1
	s_cbranch_execnz .LBB2_130
	s_branch .LBB2_132
.LBB2_129:
	s_branch .LBB2_132
.LBB2_130:                              ; =>This Inner Loop Header: Depth=1
	v_mov_b32_e32 v0, 1
	s_and_saveexec_b32 s1, s0
	s_cbranch_execz .LBB2_127
; %bb.131:                              ;   in Loop: Header=BB2_130 Depth=1
	global_load_b32 v0, v[10:11], off offset:20 scope:SCOPE_SYS
	s_wait_loadcnt 0x0
	global_inv scope:SCOPE_SYS
	v_and_b32_e32 v0, 1, v0
	s_branch .LBB2_127
.LBB2_132:
	s_and_saveexec_b32 s1, s0
	s_cbranch_execz .LBB2_136
; %bb.133:
	v_mov_b32_e32 v6, 0
	s_clause 0x2
	global_load_b64 v[0:1], v6, s[2:3] offset:40
	global_load_b64 v[10:11], v6, s[2:3] offset:24 scope:SCOPE_SYS
	global_load_b64 v[2:3], v6, s[2:3]
	s_wait_loadcnt 0x2
	v_readfirstlane_b32 s6, v0
	v_readfirstlane_b32 s7, v1
	s_add_nc_u64 s[0:1], s[6:7], 1
	s_delay_alu instid0(SALU_CYCLE_1) | instskip(NEXT) | instid1(SALU_CYCLE_1)
	s_add_nc_u64 s[4:5], s[0:1], s[4:5]
	s_cmp_eq_u64 s[4:5], 0
	s_cselect_b32 s1, s1, s5
	s_cselect_b32 s0, s0, s4
	v_mov_b32_e32 v9, s1
	s_and_b64 s[4:5], s[0:1], s[6:7]
	v_mov_b32_e32 v8, s0
	s_mul_u64 s[4:5], s[4:5], 24
	s_wait_loadcnt 0x0
	v_add_nc_u64_e32 v[4:5], s[4:5], v[2:3]
	global_store_b64 v[4:5], v[10:11], off
	global_wb scope:SCOPE_SYS
	s_wait_storecnt 0x0
	s_wait_xcnt 0x0
	global_atomic_cmpswap_b64 v[2:3], v6, v[8:11], s[2:3] offset:24 th:TH_ATOMIC_RETURN scope:SCOPE_SYS
	s_wait_loadcnt 0x0
	v_cmp_ne_u64_e32 vcc_lo, v[2:3], v[10:11]
	s_and_b32 exec_lo, exec_lo, vcc_lo
	s_cbranch_execz .LBB2_136
; %bb.134:
	s_mov_b32 s4, 0
.LBB2_135:                              ; =>This Inner Loop Header: Depth=1
	v_dual_mov_b32 v0, s0 :: v_dual_mov_b32 v1, s1
	s_sleep 1
	global_store_b64 v[4:5], v[2:3], off
	global_wb scope:SCOPE_SYS
	s_wait_storecnt 0x0
	s_wait_xcnt 0x0
	global_atomic_cmpswap_b64 v[0:1], v6, v[0:3], s[2:3] offset:24 th:TH_ATOMIC_RETURN scope:SCOPE_SYS
	s_wait_loadcnt 0x0
	v_cmp_eq_u64_e32 vcc_lo, v[0:1], v[2:3]
	v_mov_b64_e32 v[2:3], v[0:1]
	s_or_b32 s4, vcc_lo, s4
	s_delay_alu instid0(SALU_CYCLE_1)
	s_and_not1_b32 exec_lo, exec_lo, s4
	s_cbranch_execnz .LBB2_135
.LBB2_136:
	s_endpgm
	.section	.rodata,"a",@progbits
	.p2align	6, 0x0
	.amdhsa_kernel _ZN2at6native30tinygemm_m16n8k16_chunk_kernelINS0_10ALayout_RMILNS0_14KReductionTypeE0EEENS0_15BLayout_TC_int4ILi8ELi32EEES4_Li8ELi8EEEvPKvS8_S8_Pviiiiii
		.amdhsa_group_segment_fixed_size 0
		.amdhsa_private_segment_fixed_size 0
		.amdhsa_kernarg_size 312
		.amdhsa_user_sgpr_count 2
		.amdhsa_user_sgpr_dispatch_ptr 0
		.amdhsa_user_sgpr_queue_ptr 0
		.amdhsa_user_sgpr_kernarg_segment_ptr 1
		.amdhsa_user_sgpr_dispatch_id 0
		.amdhsa_user_sgpr_kernarg_preload_length 0
		.amdhsa_user_sgpr_kernarg_preload_offset 0
		.amdhsa_user_sgpr_private_segment_size 0
		.amdhsa_wavefront_size32 1
		.amdhsa_uses_dynamic_stack 0
		.amdhsa_enable_private_segment 0
		.amdhsa_system_sgpr_workgroup_id_x 1
		.amdhsa_system_sgpr_workgroup_id_y 0
		.amdhsa_system_sgpr_workgroup_id_z 0
		.amdhsa_system_sgpr_workgroup_info 0
		.amdhsa_system_vgpr_workitem_id 0
		.amdhsa_next_free_vgpr 33
		.amdhsa_next_free_sgpr 18
		.amdhsa_named_barrier_count 0
		.amdhsa_reserve_vcc 1
		.amdhsa_float_round_mode_32 0
		.amdhsa_float_round_mode_16_64 0
		.amdhsa_float_denorm_mode_32 3
		.amdhsa_float_denorm_mode_16_64 3
		.amdhsa_fp16_overflow 0
		.amdhsa_memory_ordered 1
		.amdhsa_forward_progress 1
		.amdhsa_inst_pref_size 43
		.amdhsa_round_robin_scheduling 0
		.amdhsa_exception_fp_ieee_invalid_op 0
		.amdhsa_exception_fp_denorm_src 0
		.amdhsa_exception_fp_ieee_div_zero 0
		.amdhsa_exception_fp_ieee_overflow 0
		.amdhsa_exception_fp_ieee_underflow 0
		.amdhsa_exception_fp_ieee_inexact 0
		.amdhsa_exception_int_div_zero 0
	.end_amdhsa_kernel
	.section	.text._ZN2at6native30tinygemm_m16n8k16_chunk_kernelINS0_10ALayout_RMILNS0_14KReductionTypeE0EEENS0_15BLayout_TC_int4ILi8ELi32EEES4_Li8ELi8EEEvPKvS8_S8_Pviiiiii,"axG",@progbits,_ZN2at6native30tinygemm_m16n8k16_chunk_kernelINS0_10ALayout_RMILNS0_14KReductionTypeE0EEENS0_15BLayout_TC_int4ILi8ELi32EEES4_Li8ELi8EEEvPKvS8_S8_Pviiiiii,comdat
.Lfunc_end2:
	.size	_ZN2at6native30tinygemm_m16n8k16_chunk_kernelINS0_10ALayout_RMILNS0_14KReductionTypeE0EEENS0_15BLayout_TC_int4ILi8ELi32EEES4_Li8ELi8EEEvPKvS8_S8_Pviiiiii, .Lfunc_end2-_ZN2at6native30tinygemm_m16n8k16_chunk_kernelINS0_10ALayout_RMILNS0_14KReductionTypeE0EEENS0_15BLayout_TC_int4ILi8ELi32EEES4_Li8ELi8EEEvPKvS8_S8_Pviiiiii
                                        ; -- End function
	.set _ZN2at6native30tinygemm_m16n8k16_chunk_kernelINS0_10ALayout_RMILNS0_14KReductionTypeE0EEENS0_15BLayout_TC_int4ILi8ELi32EEES4_Li8ELi8EEEvPKvS8_S8_Pviiiiii.num_vgpr, 33
	.set _ZN2at6native30tinygemm_m16n8k16_chunk_kernelINS0_10ALayout_RMILNS0_14KReductionTypeE0EEENS0_15BLayout_TC_int4ILi8ELi32EEES4_Li8ELi8EEEvPKvS8_S8_Pviiiiii.num_agpr, 0
	.set _ZN2at6native30tinygemm_m16n8k16_chunk_kernelINS0_10ALayout_RMILNS0_14KReductionTypeE0EEENS0_15BLayout_TC_int4ILi8ELi32EEES4_Li8ELi8EEEvPKvS8_S8_Pviiiiii.numbered_sgpr, 18
	.set _ZN2at6native30tinygemm_m16n8k16_chunk_kernelINS0_10ALayout_RMILNS0_14KReductionTypeE0EEENS0_15BLayout_TC_int4ILi8ELi32EEES4_Li8ELi8EEEvPKvS8_S8_Pviiiiii.num_named_barrier, 0
	.set _ZN2at6native30tinygemm_m16n8k16_chunk_kernelINS0_10ALayout_RMILNS0_14KReductionTypeE0EEENS0_15BLayout_TC_int4ILi8ELi32EEES4_Li8ELi8EEEvPKvS8_S8_Pviiiiii.private_seg_size, 0
	.set _ZN2at6native30tinygemm_m16n8k16_chunk_kernelINS0_10ALayout_RMILNS0_14KReductionTypeE0EEENS0_15BLayout_TC_int4ILi8ELi32EEES4_Li8ELi8EEEvPKvS8_S8_Pviiiiii.uses_vcc, 1
	.set _ZN2at6native30tinygemm_m16n8k16_chunk_kernelINS0_10ALayout_RMILNS0_14KReductionTypeE0EEENS0_15BLayout_TC_int4ILi8ELi32EEES4_Li8ELi8EEEvPKvS8_S8_Pviiiiii.uses_flat_scratch, 0
	.set _ZN2at6native30tinygemm_m16n8k16_chunk_kernelINS0_10ALayout_RMILNS0_14KReductionTypeE0EEENS0_15BLayout_TC_int4ILi8ELi32EEES4_Li8ELi8EEEvPKvS8_S8_Pviiiiii.has_dyn_sized_stack, 0
	.set _ZN2at6native30tinygemm_m16n8k16_chunk_kernelINS0_10ALayout_RMILNS0_14KReductionTypeE0EEENS0_15BLayout_TC_int4ILi8ELi32EEES4_Li8ELi8EEEvPKvS8_S8_Pviiiiii.has_recursion, 0
	.set _ZN2at6native30tinygemm_m16n8k16_chunk_kernelINS0_10ALayout_RMILNS0_14KReductionTypeE0EEENS0_15BLayout_TC_int4ILi8ELi32EEES4_Li8ELi8EEEvPKvS8_S8_Pviiiiii.has_indirect_call, 0
	.section	.AMDGPU.csdata,"",@progbits
; Kernel info:
; codeLenInByte = 5440
; TotalNumSgprs: 20
; NumVgprs: 33
; ScratchSize: 0
; MemoryBound: 0
; FloatMode: 240
; IeeeMode: 1
; LDSByteSize: 0 bytes/workgroup (compile time only)
; SGPRBlocks: 0
; VGPRBlocks: 2
; NumSGPRsForWavesPerEU: 20
; NumVGPRsForWavesPerEU: 33
; NamedBarCnt: 0
; Occupancy: 16
; WaveLimiterHint : 1
; COMPUTE_PGM_RSRC2:SCRATCH_EN: 0
; COMPUTE_PGM_RSRC2:USER_SGPR: 2
; COMPUTE_PGM_RSRC2:TRAP_HANDLER: 0
; COMPUTE_PGM_RSRC2:TGID_X_EN: 1
; COMPUTE_PGM_RSRC2:TGID_Y_EN: 0
; COMPUTE_PGM_RSRC2:TGID_Z_EN: 0
; COMPUTE_PGM_RSRC2:TIDIG_COMP_CNT: 0
	.section	.text._ZN2at6native30tinygemm_m16n8k16_chunk_kernelINS0_10ALayout_RMILNS0_14KReductionTypeE0EEENS0_15BLayout_TC_int4ILi2ELi64EEES4_Li8ELi8EEEvPKvS8_S8_Pviiiiii,"axG",@progbits,_ZN2at6native30tinygemm_m16n8k16_chunk_kernelINS0_10ALayout_RMILNS0_14KReductionTypeE0EEENS0_15BLayout_TC_int4ILi2ELi64EEES4_Li8ELi8EEEvPKvS8_S8_Pviiiiii,comdat
	.protected	_ZN2at6native30tinygemm_m16n8k16_chunk_kernelINS0_10ALayout_RMILNS0_14KReductionTypeE0EEENS0_15BLayout_TC_int4ILi2ELi64EEES4_Li8ELi8EEEvPKvS8_S8_Pviiiiii ; -- Begin function _ZN2at6native30tinygemm_m16n8k16_chunk_kernelINS0_10ALayout_RMILNS0_14KReductionTypeE0EEENS0_15BLayout_TC_int4ILi2ELi64EEES4_Li8ELi8EEEvPKvS8_S8_Pviiiiii
	.globl	_ZN2at6native30tinygemm_m16n8k16_chunk_kernelINS0_10ALayout_RMILNS0_14KReductionTypeE0EEENS0_15BLayout_TC_int4ILi2ELi64EEES4_Li8ELi8EEEvPKvS8_S8_Pviiiiii
	.p2align	8
	.type	_ZN2at6native30tinygemm_m16n8k16_chunk_kernelINS0_10ALayout_RMILNS0_14KReductionTypeE0EEENS0_15BLayout_TC_int4ILi2ELi64EEES4_Li8ELi8EEEvPKvS8_S8_Pviiiiii,@function
_ZN2at6native30tinygemm_m16n8k16_chunk_kernelINS0_10ALayout_RMILNS0_14KReductionTypeE0EEENS0_15BLayout_TC_int4ILi2ELi64EEES4_Li8ELi8EEEvPKvS8_S8_Pviiiiii: ; @_ZN2at6native30tinygemm_m16n8k16_chunk_kernelINS0_10ALayout_RMILNS0_14KReductionTypeE0EEENS0_15BLayout_TC_int4ILi2ELi64EEES4_Li8ELi8EEEvPKvS8_S8_Pviiiiii
; %bb.0:
	s_load_b64 s[2:3], s[0:1], 0x88
	v_mbcnt_lo_u32_b32 v32, -1, 0
	v_mov_b64_e32 v[2:3], 0
	s_wait_xcnt 0x0
	s_delay_alu instid0(VALU_DEP_2) | instskip(NEXT) | instid1(VALU_DEP_1)
	v_readfirstlane_b32 s0, v32
	v_cmp_eq_u32_e64 s0, s0, v32
	s_and_saveexec_b32 s1, s0
	s_cbranch_execz .LBB3_6
; %bb.1:
	v_mov_b32_e32 v0, 0
	s_mov_b32 s4, exec_lo
	s_wait_kmcnt 0x0
	global_load_b64 v[4:5], v0, s[2:3] offset:24 scope:SCOPE_SYS
	s_wait_loadcnt 0x0
	global_inv scope:SCOPE_SYS
	s_clause 0x1
	global_load_b64 v[2:3], v0, s[2:3] offset:40
	global_load_b64 v[6:7], v0, s[2:3]
	s_wait_loadcnt 0x1
	v_and_b32_e32 v2, v2, v4
	v_and_b32_e32 v3, v3, v5
	s_delay_alu instid0(VALU_DEP_1) | instskip(SKIP_1) | instid1(VALU_DEP_1)
	v_mul_u64_e32 v[2:3], 24, v[2:3]
	s_wait_loadcnt 0x0
	v_add_nc_u64_e32 v[2:3], v[6:7], v[2:3]
	global_load_b64 v[2:3], v[2:3], off scope:SCOPE_SYS
	s_wait_xcnt 0x0
	s_wait_loadcnt 0x0
	global_atomic_cmpswap_b64 v[2:3], v0, v[2:5], s[2:3] offset:24 th:TH_ATOMIC_RETURN scope:SCOPE_SYS
	s_wait_loadcnt 0x0
	global_inv scope:SCOPE_SYS
	s_wait_xcnt 0x0
	v_cmpx_ne_u64_e64 v[2:3], v[4:5]
	s_cbranch_execz .LBB3_5
; %bb.2:
	s_mov_b32 s5, 0
.LBB3_3:                                ; =>This Inner Loop Header: Depth=1
	s_sleep 1
	s_clause 0x1
	global_load_b64 v[6:7], v0, s[2:3] offset:40
	global_load_b64 v[8:9], v0, s[2:3]
	v_mov_b64_e32 v[4:5], v[2:3]
	s_wait_loadcnt 0x1
	s_delay_alu instid0(VALU_DEP_1) | instskip(SKIP_1) | instid1(VALU_DEP_1)
	v_and_b32_e32 v1, v6, v4
	s_wait_loadcnt 0x0
	v_mad_nc_u64_u32 v[2:3], v1, 24, v[8:9]
	s_delay_alu instid0(VALU_DEP_3) | instskip(NEXT) | instid1(VALU_DEP_1)
	v_and_b32_e32 v1, v7, v5
	v_mad_u32 v3, v1, 24, v3
	global_load_b64 v[2:3], v[2:3], off scope:SCOPE_SYS
	s_wait_xcnt 0x0
	s_wait_loadcnt 0x0
	global_atomic_cmpswap_b64 v[2:3], v0, v[2:5], s[2:3] offset:24 th:TH_ATOMIC_RETURN scope:SCOPE_SYS
	s_wait_loadcnt 0x0
	global_inv scope:SCOPE_SYS
	v_cmp_eq_u64_e32 vcc_lo, v[2:3], v[4:5]
	s_or_b32 s5, vcc_lo, s5
	s_wait_xcnt 0x0
	s_and_not1_b32 exec_lo, exec_lo, s5
	s_cbranch_execnz .LBB3_3
; %bb.4:
	s_or_b32 exec_lo, exec_lo, s5
.LBB3_5:
	s_delay_alu instid0(SALU_CYCLE_1)
	s_or_b32 exec_lo, exec_lo, s4
.LBB3_6:
	s_delay_alu instid0(SALU_CYCLE_1)
	s_or_b32 exec_lo, exec_lo, s1
	v_readfirstlane_b32 s4, v2
	v_mov_b32_e32 v1, 0
	v_readfirstlane_b32 s5, v3
	s_mov_b32 s1, exec_lo
	s_wait_kmcnt 0x0
	s_clause 0x1
	global_load_b64 v[8:9], v1, s[2:3] offset:40
	global_load_b128 v[4:7], v1, s[2:3]
	s_wait_loadcnt 0x1
	v_and_b32_e32 v10, s4, v8
	v_and_b32_e32 v11, s5, v9
	s_delay_alu instid0(VALU_DEP_1) | instskip(SKIP_1) | instid1(VALU_DEP_1)
	v_mul_u64_e32 v[2:3], 24, v[10:11]
	s_wait_loadcnt 0x0
	v_add_nc_u64_e32 v[8:9], v[4:5], v[2:3]
	s_and_saveexec_b32 s6, s0
	s_cbranch_execz .LBB3_8
; %bb.7:
	v_mov_b64_e32 v[2:3], 0x100000002
	v_mov_b32_e32 v0, s1
	global_store_b128 v[8:9], v[0:3], off offset:8
.LBB3_8:
	s_wait_xcnt 0x0
	s_or_b32 exec_lo, exec_lo, s6
	v_lshlrev_b64_e32 v[2:3], 12, v[10:11]
	s_mov_b32 s8, 0
	v_dual_lshlrev_b32 v0, 6, v32 :: v_dual_mov_b32 v10, 33
	s_mov_b32 s10, s8
	s_mov_b32 s11, s8
	;; [unrolled: 1-line block ×3, first 2 shown]
	s_delay_alu instid0(VALU_DEP_2)
	v_add_nc_u64_e32 v[6:7], v[6:7], v[2:3]
	v_mov_b64_e32 v[16:17], s[10:11]
	v_mov_b64_e32 v[14:15], s[8:9]
	v_dual_mov_b32 v11, v1 :: v_dual_mov_b32 v12, v1
	v_mov_b32_e32 v13, v1
	v_readfirstlane_b32 s6, v6
	v_readfirstlane_b32 s7, v7
	s_clause 0x3
	global_store_b128 v0, v[10:13], s[6:7]
	global_store_b128 v0, v[14:17], s[6:7] offset:16
	global_store_b128 v0, v[14:17], s[6:7] offset:32
	;; [unrolled: 1-line block ×3, first 2 shown]
	s_wait_xcnt 0x0
	s_and_saveexec_b32 s1, s0
	s_cbranch_execz .LBB3_16
; %bb.9:
	v_dual_mov_b32 v12, 0 :: v_dual_mov_b32 v15, s5
	s_mov_b32 s6, exec_lo
	s_clause 0x1
	global_load_b64 v[16:17], v12, s[2:3] offset:32 scope:SCOPE_SYS
	global_load_b64 v[2:3], v12, s[2:3] offset:40
	s_wait_loadcnt 0x0
	v_dual_mov_b32 v14, s4 :: v_dual_bitop2_b32 v3, s5, v3 bitop3:0x40
	v_and_b32_e32 v2, s4, v2
	s_delay_alu instid0(VALU_DEP_1) | instskip(NEXT) | instid1(VALU_DEP_1)
	v_mul_u64_e32 v[2:3], 24, v[2:3]
	v_add_nc_u64_e32 v[10:11], v[4:5], v[2:3]
	global_store_b64 v[10:11], v[16:17], off
	global_wb scope:SCOPE_SYS
	s_wait_storecnt 0x0
	s_wait_xcnt 0x0
	global_atomic_cmpswap_b64 v[4:5], v12, v[14:17], s[2:3] offset:32 th:TH_ATOMIC_RETURN scope:SCOPE_SYS
	s_wait_loadcnt 0x0
	v_cmpx_ne_u64_e64 v[4:5], v[16:17]
	s_cbranch_execz .LBB3_12
; %bb.10:
	s_mov_b32 s7, 0
.LBB3_11:                               ; =>This Inner Loop Header: Depth=1
	v_dual_mov_b32 v2, s4 :: v_dual_mov_b32 v3, s5
	s_sleep 1
	global_store_b64 v[10:11], v[4:5], off
	global_wb scope:SCOPE_SYS
	s_wait_storecnt 0x0
	s_wait_xcnt 0x0
	global_atomic_cmpswap_b64 v[2:3], v12, v[2:5], s[2:3] offset:32 th:TH_ATOMIC_RETURN scope:SCOPE_SYS
	s_wait_loadcnt 0x0
	v_cmp_eq_u64_e32 vcc_lo, v[2:3], v[4:5]
	v_mov_b64_e32 v[4:5], v[2:3]
	s_or_b32 s7, vcc_lo, s7
	s_delay_alu instid0(SALU_CYCLE_1)
	s_and_not1_b32 exec_lo, exec_lo, s7
	s_cbranch_execnz .LBB3_11
.LBB3_12:
	s_or_b32 exec_lo, exec_lo, s6
	v_mov_b32_e32 v5, 0
	s_mov_b32 s7, exec_lo
	s_mov_b32 s6, exec_lo
	v_mbcnt_lo_u32_b32 v4, s7, 0
	global_load_b64 v[2:3], v5, s[2:3] offset:16
	s_wait_xcnt 0x0
	v_cmpx_eq_u32_e32 0, v4
	s_cbranch_execz .LBB3_14
; %bb.13:
	s_bcnt1_i32_b32 s7, s7
	s_delay_alu instid0(SALU_CYCLE_1)
	v_mov_b32_e32 v4, s7
	global_wb scope:SCOPE_SYS
	s_wait_loadcnt 0x0
	s_wait_storecnt 0x0
	global_atomic_add_u64 v[2:3], v[4:5], off offset:8 scope:SCOPE_SYS
.LBB3_14:
	s_wait_xcnt 0x0
	s_or_b32 exec_lo, exec_lo, s6
	s_wait_loadcnt 0x0
	global_load_b64 v[4:5], v[2:3], off offset:16
	s_wait_loadcnt 0x0
	v_cmp_eq_u64_e32 vcc_lo, 0, v[4:5]
	s_cbranch_vccnz .LBB3_16
; %bb.15:
	global_load_b32 v2, v[2:3], off offset:24
	s_wait_xcnt 0x0
	v_mov_b32_e32 v3, 0
	s_wait_loadcnt 0x0
	v_readfirstlane_b32 s6, v2
	global_wb scope:SCOPE_SYS
	s_wait_storecnt 0x0
	global_store_b64 v[4:5], v[2:3], off scope:SCOPE_SYS
	s_and_b32 m0, s6, 0xffffff
	s_sendmsg sendmsg(MSG_INTERRUPT)
.LBB3_16:
	s_wait_xcnt 0x0
	s_or_b32 exec_lo, exec_lo, s1
	v_add_nc_u64_e32 v[2:3], v[6:7], v[0:1]
	s_branch .LBB3_20
.LBB3_17:                               ;   in Loop: Header=BB3_20 Depth=1
	s_wait_xcnt 0x0
	s_or_b32 exec_lo, exec_lo, s1
	s_delay_alu instid0(VALU_DEP_1)
	v_readfirstlane_b32 s1, v1
	s_cmp_eq_u32 s1, 0
	s_cbranch_scc1 .LBB3_19
; %bb.18:                               ;   in Loop: Header=BB3_20 Depth=1
	s_sleep 1
	s_cbranch_execnz .LBB3_20
	s_branch .LBB3_22
.LBB3_19:
	s_branch .LBB3_22
.LBB3_20:                               ; =>This Inner Loop Header: Depth=1
	v_mov_b32_e32 v1, 1
	s_and_saveexec_b32 s1, s0
	s_cbranch_execz .LBB3_17
; %bb.21:                               ;   in Loop: Header=BB3_20 Depth=1
	global_load_b32 v1, v[8:9], off offset:20 scope:SCOPE_SYS
	s_wait_loadcnt 0x0
	global_inv scope:SCOPE_SYS
	v_and_b32_e32 v1, 1, v1
	s_branch .LBB3_17
.LBB3_22:
	global_load_b64 v[2:3], v[2:3], off
	s_wait_xcnt 0x0
	s_and_saveexec_b32 s6, s0
	s_cbranch_execz .LBB3_26
; %bb.23:
	v_mov_b32_e32 v1, 0
	s_clause 0x2
	global_load_b64 v[4:5], v1, s[2:3] offset:40
	global_load_b64 v[12:13], v1, s[2:3] offset:24 scope:SCOPE_SYS
	global_load_b64 v[6:7], v1, s[2:3]
	s_wait_loadcnt 0x2
	v_readfirstlane_b32 s8, v4
	v_readfirstlane_b32 s9, v5
	s_add_nc_u64 s[0:1], s[8:9], 1
	s_delay_alu instid0(SALU_CYCLE_1) | instskip(NEXT) | instid1(SALU_CYCLE_1)
	s_add_nc_u64 s[4:5], s[0:1], s[4:5]
	s_cmp_eq_u64 s[4:5], 0
	s_cselect_b32 s1, s1, s5
	s_cselect_b32 s0, s0, s4
	v_mov_b32_e32 v11, s1
	s_and_b64 s[4:5], s[0:1], s[8:9]
	v_mov_b32_e32 v10, s0
	s_mul_u64 s[4:5], s[4:5], 24
	s_wait_loadcnt 0x0
	v_add_nc_u64_e32 v[8:9], s[4:5], v[6:7]
	global_store_b64 v[8:9], v[12:13], off
	global_wb scope:SCOPE_SYS
	s_wait_storecnt 0x0
	s_wait_xcnt 0x0
	global_atomic_cmpswap_b64 v[6:7], v1, v[10:13], s[2:3] offset:24 th:TH_ATOMIC_RETURN scope:SCOPE_SYS
	s_wait_loadcnt 0x0
	v_cmp_ne_u64_e32 vcc_lo, v[6:7], v[12:13]
	s_and_b32 exec_lo, exec_lo, vcc_lo
	s_cbranch_execz .LBB3_26
; %bb.24:
	s_mov_b32 s4, 0
.LBB3_25:                               ; =>This Inner Loop Header: Depth=1
	v_dual_mov_b32 v4, s0 :: v_dual_mov_b32 v5, s1
	s_sleep 1
	global_store_b64 v[8:9], v[6:7], off
	global_wb scope:SCOPE_SYS
	s_wait_storecnt 0x0
	s_wait_xcnt 0x0
	global_atomic_cmpswap_b64 v[4:5], v1, v[4:7], s[2:3] offset:24 th:TH_ATOMIC_RETURN scope:SCOPE_SYS
	s_wait_loadcnt 0x0
	v_cmp_eq_u64_e32 vcc_lo, v[4:5], v[6:7]
	v_mov_b64_e32 v[6:7], v[4:5]
	s_or_b32 s4, vcc_lo, s4
	s_delay_alu instid0(SALU_CYCLE_1)
	s_and_not1_b32 exec_lo, exec_lo, s4
	s_cbranch_execnz .LBB3_25
.LBB3_26:
	s_or_b32 exec_lo, exec_lo, s6
	s_get_pc_i64 s[4:5]
	s_add_nc_u64 s[4:5], s[4:5], .str@rel64+4
	s_mov_b64 s[6:7], 0
	s_cmp_lg_u64 s[4:5], 0
	s_cselect_b32 s8, -1, 0
	s_cmp_eq_u64 s[4:5], 0
	s_cbranch_scc1 .LBB3_30
; %bb.27:
	s_get_pc_i64 s[0:1]
	s_add_nc_u64 s[0:1], s[0:1], .str@rel64+3
.LBB3_28:                               ; =>This Inner Loop Header: Depth=1
	s_load_u8 s6, s[0:1], 0x1
	s_wait_xcnt 0x0
	s_add_nc_u64 s[0:1], s[0:1], 1
	s_wait_kmcnt 0x0
	s_cmp_lg_u32 s6, 0
	s_cbranch_scc1 .LBB3_28
; %bb.29:
	s_get_pc_i64 s[6:7]
	s_add_nc_u64 s[6:7], s[6:7], .str@rel64+4
	s_delay_alu instid0(SALU_CYCLE_1) | instskip(NEXT) | instid1(SALU_CYCLE_1)
	s_sub_nc_u64 s[0:1], s[0:1], s[6:7]
	s_add_nc_u64 s[6:7], s[0:1], 1
.LBB3_30:
	s_and_b32 vcc_lo, exec_lo, s8
	s_cbranch_vccz .LBB3_109
; %bb.31:
	v_mov_b64_e32 v[6:7], 0x100000002
	s_wait_loadcnt 0x0
	v_dual_mov_b32 v9, v3 :: v_dual_bitop2_b32 v8, -3, v2 bitop3:0x40
	v_mov_b32_e32 v5, 0
	s_branch .LBB3_33
.LBB3_32:                               ;   in Loop: Header=BB3_33 Depth=1
	s_or_b32 exec_lo, exec_lo, s12
	s_sub_nc_u64 s[6:7], s[6:7], s[8:9]
	s_add_nc_u64 s[4:5], s[4:5], s[8:9]
	s_cmp_lg_u64 s[6:7], 0
	s_cbranch_scc0 .LBB3_108
.LBB3_33:                               ; =>This Loop Header: Depth=1
                                        ;     Child Loop BB3_36 Depth 2
                                        ;     Child Loop BB3_43 Depth 2
	;; [unrolled: 1-line block ×11, first 2 shown]
	s_wait_loadcnt 0x0
	v_min_u64 v[10:11], s[6:7], 56
	v_cmp_gt_u64_e64 s0, s[6:7], 7
	s_and_b32 vcc_lo, exec_lo, s0
	v_readfirstlane_b32 s8, v10
	v_readfirstlane_b32 s9, v11
	s_cbranch_vccnz .LBB3_38
; %bb.34:                               ;   in Loop: Header=BB3_33 Depth=1
	v_mov_b64_e32 v[10:11], 0
	s_cmp_eq_u64 s[6:7], 0
	s_cbranch_scc1 .LBB3_37
; %bb.35:                               ;   in Loop: Header=BB3_33 Depth=1
	s_mov_b64 s[0:1], 0
	s_mov_b64 s[10:11], 0
.LBB3_36:                               ;   Parent Loop BB3_33 Depth=1
                                        ; =>  This Inner Loop Header: Depth=2
	s_wait_xcnt 0x0
	s_add_nc_u64 s[12:13], s[4:5], s[10:11]
	s_add_nc_u64 s[10:11], s[10:11], 1
	global_load_u8 v1, v5, s[12:13]
	s_cmp_lg_u32 s8, s10
	s_wait_loadcnt 0x0
	v_and_b32_e32 v4, 0xffff, v1
	s_delay_alu instid0(VALU_DEP_1) | instskip(SKIP_1) | instid1(VALU_DEP_1)
	v_lshlrev_b64_e32 v[12:13], s0, v[4:5]
	s_add_nc_u64 s[0:1], s[0:1], 8
	v_or_b32_e32 v10, v12, v10
	s_delay_alu instid0(VALU_DEP_2)
	v_or_b32_e32 v11, v13, v11
	s_cbranch_scc1 .LBB3_36
.LBB3_37:                               ;   in Loop: Header=BB3_33 Depth=1
	s_mov_b64 s[10:11], s[4:5]
	s_mov_b32 s14, 0
	s_cbranch_execz .LBB3_39
	s_branch .LBB3_40
.LBB3_38:                               ;   in Loop: Header=BB3_33 Depth=1
	s_add_nc_u64 s[10:11], s[4:5], 8
	s_mov_b32 s14, 0
.LBB3_39:                               ;   in Loop: Header=BB3_33 Depth=1
	global_load_b64 v[10:11], v5, s[4:5]
	s_add_co_i32 s14, s8, -8
.LBB3_40:                               ;   in Loop: Header=BB3_33 Depth=1
	s_delay_alu instid0(SALU_CYCLE_1)
	s_cmp_gt_u32 s14, 7
	s_cbranch_scc1 .LBB3_45
; %bb.41:                               ;   in Loop: Header=BB3_33 Depth=1
	v_mov_b64_e32 v[12:13], 0
	s_cmp_eq_u32 s14, 0
	s_cbranch_scc1 .LBB3_44
; %bb.42:                               ;   in Loop: Header=BB3_33 Depth=1
	s_mov_b64 s[0:1], 0
	s_wait_xcnt 0x0
	s_mov_b64 s[12:13], 0
.LBB3_43:                               ;   Parent Loop BB3_33 Depth=1
                                        ; =>  This Inner Loop Header: Depth=2
	s_wait_xcnt 0x0
	s_add_nc_u64 s[16:17], s[10:11], s[12:13]
	s_add_nc_u64 s[12:13], s[12:13], 1
	global_load_u8 v1, v5, s[16:17]
	s_cmp_lg_u32 s14, s12
	s_wait_loadcnt 0x0
	v_and_b32_e32 v4, 0xffff, v1
	s_delay_alu instid0(VALU_DEP_1) | instskip(SKIP_1) | instid1(VALU_DEP_1)
	v_lshlrev_b64_e32 v[14:15], s0, v[4:5]
	s_add_nc_u64 s[0:1], s[0:1], 8
	v_or_b32_e32 v12, v14, v12
	s_delay_alu instid0(VALU_DEP_2)
	v_or_b32_e32 v13, v15, v13
	s_cbranch_scc1 .LBB3_43
.LBB3_44:                               ;   in Loop: Header=BB3_33 Depth=1
	s_wait_xcnt 0x0
	s_mov_b64 s[0:1], s[10:11]
	s_mov_b32 s15, 0
	s_cbranch_execz .LBB3_46
	s_branch .LBB3_47
.LBB3_45:                               ;   in Loop: Header=BB3_33 Depth=1
	s_add_nc_u64 s[0:1], s[10:11], 8
	s_wait_xcnt 0x0
                                        ; implicit-def: $vgpr12_vgpr13
	s_mov_b32 s15, 0
.LBB3_46:                               ;   in Loop: Header=BB3_33 Depth=1
	global_load_b64 v[12:13], v5, s[10:11]
	s_add_co_i32 s15, s14, -8
.LBB3_47:                               ;   in Loop: Header=BB3_33 Depth=1
	s_delay_alu instid0(SALU_CYCLE_1)
	s_cmp_gt_u32 s15, 7
	s_cbranch_scc1 .LBB3_52
; %bb.48:                               ;   in Loop: Header=BB3_33 Depth=1
	v_mov_b64_e32 v[14:15], 0
	s_cmp_eq_u32 s15, 0
	s_cbranch_scc1 .LBB3_51
; %bb.49:                               ;   in Loop: Header=BB3_33 Depth=1
	s_wait_xcnt 0x0
	s_mov_b64 s[10:11], 0
	s_mov_b64 s[12:13], 0
.LBB3_50:                               ;   Parent Loop BB3_33 Depth=1
                                        ; =>  This Inner Loop Header: Depth=2
	s_wait_xcnt 0x0
	s_add_nc_u64 s[16:17], s[0:1], s[12:13]
	s_add_nc_u64 s[12:13], s[12:13], 1
	global_load_u8 v1, v5, s[16:17]
	s_cmp_lg_u32 s15, s12
	s_wait_loadcnt 0x0
	v_and_b32_e32 v4, 0xffff, v1
	s_delay_alu instid0(VALU_DEP_1) | instskip(SKIP_1) | instid1(VALU_DEP_1)
	v_lshlrev_b64_e32 v[16:17], s10, v[4:5]
	s_add_nc_u64 s[10:11], s[10:11], 8
	v_or_b32_e32 v14, v16, v14
	s_delay_alu instid0(VALU_DEP_2)
	v_or_b32_e32 v15, v17, v15
	s_cbranch_scc1 .LBB3_50
.LBB3_51:                               ;   in Loop: Header=BB3_33 Depth=1
	s_wait_xcnt 0x0
	s_mov_b64 s[10:11], s[0:1]
	s_mov_b32 s14, 0
	s_cbranch_execz .LBB3_53
	s_branch .LBB3_54
.LBB3_52:                               ;   in Loop: Header=BB3_33 Depth=1
	s_wait_xcnt 0x0
	s_add_nc_u64 s[10:11], s[0:1], 8
	s_mov_b32 s14, 0
.LBB3_53:                               ;   in Loop: Header=BB3_33 Depth=1
	global_load_b64 v[14:15], v5, s[0:1]
	s_add_co_i32 s14, s15, -8
.LBB3_54:                               ;   in Loop: Header=BB3_33 Depth=1
	s_delay_alu instid0(SALU_CYCLE_1)
	s_cmp_gt_u32 s14, 7
	s_cbranch_scc1 .LBB3_59
; %bb.55:                               ;   in Loop: Header=BB3_33 Depth=1
	v_mov_b64_e32 v[16:17], 0
	s_cmp_eq_u32 s14, 0
	s_cbranch_scc1 .LBB3_58
; %bb.56:                               ;   in Loop: Header=BB3_33 Depth=1
	s_wait_xcnt 0x0
	s_mov_b64 s[0:1], 0
	s_mov_b64 s[12:13], 0
.LBB3_57:                               ;   Parent Loop BB3_33 Depth=1
                                        ; =>  This Inner Loop Header: Depth=2
	s_wait_xcnt 0x0
	s_add_nc_u64 s[16:17], s[10:11], s[12:13]
	s_add_nc_u64 s[12:13], s[12:13], 1
	global_load_u8 v1, v5, s[16:17]
	s_cmp_lg_u32 s14, s12
	s_wait_loadcnt 0x0
	v_and_b32_e32 v4, 0xffff, v1
	s_delay_alu instid0(VALU_DEP_1) | instskip(SKIP_1) | instid1(VALU_DEP_1)
	v_lshlrev_b64_e32 v[18:19], s0, v[4:5]
	s_add_nc_u64 s[0:1], s[0:1], 8
	v_or_b32_e32 v16, v18, v16
	s_delay_alu instid0(VALU_DEP_2)
	v_or_b32_e32 v17, v19, v17
	s_cbranch_scc1 .LBB3_57
.LBB3_58:                               ;   in Loop: Header=BB3_33 Depth=1
	s_wait_xcnt 0x0
	s_mov_b64 s[0:1], s[10:11]
	s_mov_b32 s15, 0
	s_cbranch_execz .LBB3_60
	s_branch .LBB3_61
.LBB3_59:                               ;   in Loop: Header=BB3_33 Depth=1
	s_wait_xcnt 0x0
	s_add_nc_u64 s[0:1], s[10:11], 8
                                        ; implicit-def: $vgpr16_vgpr17
	s_mov_b32 s15, 0
.LBB3_60:                               ;   in Loop: Header=BB3_33 Depth=1
	global_load_b64 v[16:17], v5, s[10:11]
	s_add_co_i32 s15, s14, -8
.LBB3_61:                               ;   in Loop: Header=BB3_33 Depth=1
	s_delay_alu instid0(SALU_CYCLE_1)
	s_cmp_gt_u32 s15, 7
	s_cbranch_scc1 .LBB3_66
; %bb.62:                               ;   in Loop: Header=BB3_33 Depth=1
	v_mov_b64_e32 v[18:19], 0
	s_cmp_eq_u32 s15, 0
	s_cbranch_scc1 .LBB3_65
; %bb.63:                               ;   in Loop: Header=BB3_33 Depth=1
	s_wait_xcnt 0x0
	s_mov_b64 s[10:11], 0
	s_mov_b64 s[12:13], 0
.LBB3_64:                               ;   Parent Loop BB3_33 Depth=1
                                        ; =>  This Inner Loop Header: Depth=2
	s_wait_xcnt 0x0
	s_add_nc_u64 s[16:17], s[0:1], s[12:13]
	s_add_nc_u64 s[12:13], s[12:13], 1
	global_load_u8 v1, v5, s[16:17]
	s_cmp_lg_u32 s15, s12
	s_wait_loadcnt 0x0
	v_and_b32_e32 v4, 0xffff, v1
	s_delay_alu instid0(VALU_DEP_1) | instskip(SKIP_1) | instid1(VALU_DEP_1)
	v_lshlrev_b64_e32 v[20:21], s10, v[4:5]
	s_add_nc_u64 s[10:11], s[10:11], 8
	v_or_b32_e32 v18, v20, v18
	s_delay_alu instid0(VALU_DEP_2)
	v_or_b32_e32 v19, v21, v19
	s_cbranch_scc1 .LBB3_64
.LBB3_65:                               ;   in Loop: Header=BB3_33 Depth=1
	s_wait_xcnt 0x0
	s_mov_b64 s[10:11], s[0:1]
	s_mov_b32 s14, 0
	s_cbranch_execz .LBB3_67
	s_branch .LBB3_68
.LBB3_66:                               ;   in Loop: Header=BB3_33 Depth=1
	s_wait_xcnt 0x0
	s_add_nc_u64 s[10:11], s[0:1], 8
	s_mov_b32 s14, 0
.LBB3_67:                               ;   in Loop: Header=BB3_33 Depth=1
	global_load_b64 v[18:19], v5, s[0:1]
	s_add_co_i32 s14, s15, -8
.LBB3_68:                               ;   in Loop: Header=BB3_33 Depth=1
	s_delay_alu instid0(SALU_CYCLE_1)
	s_cmp_gt_u32 s14, 7
	s_cbranch_scc1 .LBB3_73
; %bb.69:                               ;   in Loop: Header=BB3_33 Depth=1
	v_mov_b64_e32 v[20:21], 0
	s_cmp_eq_u32 s14, 0
	s_cbranch_scc1 .LBB3_72
; %bb.70:                               ;   in Loop: Header=BB3_33 Depth=1
	s_wait_xcnt 0x0
	s_mov_b64 s[0:1], 0
	s_mov_b64 s[12:13], 0
.LBB3_71:                               ;   Parent Loop BB3_33 Depth=1
                                        ; =>  This Inner Loop Header: Depth=2
	s_wait_xcnt 0x0
	s_add_nc_u64 s[16:17], s[10:11], s[12:13]
	s_add_nc_u64 s[12:13], s[12:13], 1
	global_load_u8 v1, v5, s[16:17]
	s_cmp_lg_u32 s14, s12
	s_wait_loadcnt 0x0
	v_and_b32_e32 v4, 0xffff, v1
	s_delay_alu instid0(VALU_DEP_1) | instskip(SKIP_1) | instid1(VALU_DEP_1)
	v_lshlrev_b64_e32 v[22:23], s0, v[4:5]
	s_add_nc_u64 s[0:1], s[0:1], 8
	v_or_b32_e32 v20, v22, v20
	s_delay_alu instid0(VALU_DEP_2)
	v_or_b32_e32 v21, v23, v21
	s_cbranch_scc1 .LBB3_71
.LBB3_72:                               ;   in Loop: Header=BB3_33 Depth=1
	s_wait_xcnt 0x0
	s_mov_b64 s[0:1], s[10:11]
	s_mov_b32 s15, 0
	s_cbranch_execz .LBB3_74
	s_branch .LBB3_75
.LBB3_73:                               ;   in Loop: Header=BB3_33 Depth=1
	s_wait_xcnt 0x0
	s_add_nc_u64 s[0:1], s[10:11], 8
                                        ; implicit-def: $vgpr20_vgpr21
	s_mov_b32 s15, 0
.LBB3_74:                               ;   in Loop: Header=BB3_33 Depth=1
	global_load_b64 v[20:21], v5, s[10:11]
	s_add_co_i32 s15, s14, -8
.LBB3_75:                               ;   in Loop: Header=BB3_33 Depth=1
	s_delay_alu instid0(SALU_CYCLE_1)
	s_cmp_gt_u32 s15, 7
	s_cbranch_scc1 .LBB3_80
; %bb.76:                               ;   in Loop: Header=BB3_33 Depth=1
	v_mov_b64_e32 v[22:23], 0
	s_cmp_eq_u32 s15, 0
	s_cbranch_scc1 .LBB3_79
; %bb.77:                               ;   in Loop: Header=BB3_33 Depth=1
	s_wait_xcnt 0x0
	s_mov_b64 s[10:11], 0
	s_mov_b64 s[12:13], s[0:1]
.LBB3_78:                               ;   Parent Loop BB3_33 Depth=1
                                        ; =>  This Inner Loop Header: Depth=2
	global_load_u8 v1, v5, s[12:13]
	s_add_co_i32 s15, s15, -1
	s_wait_xcnt 0x0
	s_add_nc_u64 s[12:13], s[12:13], 1
	s_cmp_lg_u32 s15, 0
	s_wait_loadcnt 0x0
	v_and_b32_e32 v4, 0xffff, v1
	s_delay_alu instid0(VALU_DEP_1) | instskip(SKIP_1) | instid1(VALU_DEP_1)
	v_lshlrev_b64_e32 v[24:25], s10, v[4:5]
	s_add_nc_u64 s[10:11], s[10:11], 8
	v_or_b32_e32 v22, v24, v22
	s_delay_alu instid0(VALU_DEP_2)
	v_or_b32_e32 v23, v25, v23
	s_cbranch_scc1 .LBB3_78
.LBB3_79:                               ;   in Loop: Header=BB3_33 Depth=1
	s_wait_xcnt 0x0
	s_cbranch_execz .LBB3_81
	s_branch .LBB3_82
.LBB3_80:                               ;   in Loop: Header=BB3_33 Depth=1
	s_wait_xcnt 0x0
.LBB3_81:                               ;   in Loop: Header=BB3_33 Depth=1
	global_load_b64 v[22:23], v5, s[0:1]
.LBB3_82:                               ;   in Loop: Header=BB3_33 Depth=1
	s_wait_xcnt 0x0
	v_readfirstlane_b32 s0, v32
	v_mov_b64_e32 v[28:29], 0
	s_delay_alu instid0(VALU_DEP_2)
	v_cmp_eq_u32_e64 s0, s0, v32
	s_and_saveexec_b32 s1, s0
	s_cbranch_execz .LBB3_88
; %bb.83:                               ;   in Loop: Header=BB3_33 Depth=1
	global_load_b64 v[26:27], v5, s[2:3] offset:24 scope:SCOPE_SYS
	s_wait_loadcnt 0x0
	global_inv scope:SCOPE_SYS
	s_clause 0x1
	global_load_b64 v[24:25], v5, s[2:3] offset:40
	global_load_b64 v[28:29], v5, s[2:3]
	s_mov_b32 s10, exec_lo
	s_wait_loadcnt 0x1
	v_and_b32_e32 v24, v24, v26
	v_and_b32_e32 v25, v25, v27
	s_delay_alu instid0(VALU_DEP_1) | instskip(SKIP_1) | instid1(VALU_DEP_1)
	v_mul_u64_e32 v[24:25], 24, v[24:25]
	s_wait_loadcnt 0x0
	v_add_nc_u64_e32 v[24:25], v[28:29], v[24:25]
	global_load_b64 v[24:25], v[24:25], off scope:SCOPE_SYS
	s_wait_xcnt 0x0
	s_wait_loadcnt 0x0
	global_atomic_cmpswap_b64 v[28:29], v5, v[24:27], s[2:3] offset:24 th:TH_ATOMIC_RETURN scope:SCOPE_SYS
	s_wait_loadcnt 0x0
	global_inv scope:SCOPE_SYS
	s_wait_xcnt 0x0
	v_cmpx_ne_u64_e64 v[28:29], v[26:27]
	s_cbranch_execz .LBB3_87
; %bb.84:                               ;   in Loop: Header=BB3_33 Depth=1
	s_mov_b32 s11, 0
.LBB3_85:                               ;   Parent Loop BB3_33 Depth=1
                                        ; =>  This Inner Loop Header: Depth=2
	s_sleep 1
	s_clause 0x1
	global_load_b64 v[24:25], v5, s[2:3] offset:40
	global_load_b64 v[30:31], v5, s[2:3]
	v_mov_b64_e32 v[26:27], v[28:29]
	s_wait_loadcnt 0x1
	s_delay_alu instid0(VALU_DEP_1) | instskip(SKIP_1) | instid1(VALU_DEP_1)
	v_and_b32_e32 v1, v24, v26
	s_wait_loadcnt 0x0
	v_mad_nc_u64_u32 v[28:29], v1, 24, v[30:31]
	s_delay_alu instid0(VALU_DEP_3) | instskip(NEXT) | instid1(VALU_DEP_1)
	v_and_b32_e32 v1, v25, v27
	v_mad_u32 v29, v1, 24, v29
	global_load_b64 v[24:25], v[28:29], off scope:SCOPE_SYS
	s_wait_xcnt 0x0
	s_wait_loadcnt 0x0
	global_atomic_cmpswap_b64 v[28:29], v5, v[24:27], s[2:3] offset:24 th:TH_ATOMIC_RETURN scope:SCOPE_SYS
	s_wait_loadcnt 0x0
	global_inv scope:SCOPE_SYS
	v_cmp_eq_u64_e32 vcc_lo, v[28:29], v[26:27]
	s_or_b32 s11, vcc_lo, s11
	s_wait_xcnt 0x0
	s_and_not1_b32 exec_lo, exec_lo, s11
	s_cbranch_execnz .LBB3_85
; %bb.86:                               ;   in Loop: Header=BB3_33 Depth=1
	s_or_b32 exec_lo, exec_lo, s11
.LBB3_87:                               ;   in Loop: Header=BB3_33 Depth=1
	s_delay_alu instid0(SALU_CYCLE_1)
	s_or_b32 exec_lo, exec_lo, s10
.LBB3_88:                               ;   in Loop: Header=BB3_33 Depth=1
	s_delay_alu instid0(SALU_CYCLE_1)
	s_or_b32 exec_lo, exec_lo, s1
	s_clause 0x1
	global_load_b64 v[30:31], v5, s[2:3] offset:40
	global_load_b128 v[24:27], v5, s[2:3]
	v_readfirstlane_b32 s10, v28
	v_readfirstlane_b32 s11, v29
	s_mov_b32 s1, exec_lo
	s_wait_loadcnt 0x1
	v_and_b32_e32 v30, s10, v30
	v_and_b32_e32 v31, s11, v31
	s_delay_alu instid0(VALU_DEP_1) | instskip(SKIP_1) | instid1(VALU_DEP_1)
	v_mul_u64_e32 v[28:29], 24, v[30:31]
	s_wait_loadcnt 0x0
	v_add_nc_u64_e32 v[28:29], v[24:25], v[28:29]
	s_wait_xcnt 0x0
	s_and_saveexec_b32 s12, s0
	s_cbranch_execz .LBB3_90
; %bb.89:                               ;   in Loop: Header=BB3_33 Depth=1
	v_mov_b32_e32 v4, s1
	global_store_b128 v[28:29], v[4:7], off offset:8
.LBB3_90:                               ;   in Loop: Header=BB3_33 Depth=1
	s_wait_xcnt 0x0
	s_or_b32 exec_lo, exec_lo, s12
	v_cmp_gt_u64_e64 s1, s[6:7], 56
	v_lshlrev_b64_e32 v[30:31], 12, v[30:31]
	v_and_b32_e32 v1, 0xffffff1f, v8
	s_and_b32 s1, s1, exec_lo
	s_delay_alu instid0(VALU_DEP_2) | instskip(SKIP_4) | instid1(VALU_DEP_2)
	v_add_nc_u64_e32 v[26:27], v[26:27], v[30:31]
	s_cselect_b32 s1, 0, 2
	s_lshl_b32 s12, s8, 2
	v_or_b32_e32 v1, s1, v1
	s_add_co_i32 s1, s12, 28
	v_readfirstlane_b32 s12, v26
	s_delay_alu instid0(VALU_DEP_3) | instskip(NEXT) | instid1(VALU_DEP_3)
	v_readfirstlane_b32 s13, v27
	v_and_or_b32 v8, 0x1e0, s1, v1
	s_clause 0x3
	global_store_b128 v0, v[8:11], s[12:13]
	global_store_b128 v0, v[12:15], s[12:13] offset:16
	global_store_b128 v0, v[16:19], s[12:13] offset:32
	;; [unrolled: 1-line block ×3, first 2 shown]
	s_wait_xcnt 0x0
	s_and_saveexec_b32 s1, s0
	s_cbranch_execz .LBB3_98
; %bb.91:                               ;   in Loop: Header=BB3_33 Depth=1
	s_clause 0x1
	global_load_b64 v[16:17], v5, s[2:3] offset:32 scope:SCOPE_SYS
	global_load_b64 v[8:9], v5, s[2:3] offset:40
	s_mov_b32 s12, exec_lo
	v_dual_mov_b32 v14, s10 :: v_dual_mov_b32 v15, s11
	s_wait_loadcnt 0x0
	v_and_b32_e32 v9, s11, v9
	v_and_b32_e32 v8, s10, v8
	s_delay_alu instid0(VALU_DEP_1) | instskip(NEXT) | instid1(VALU_DEP_1)
	v_mul_u64_e32 v[8:9], 24, v[8:9]
	v_add_nc_u64_e32 v[12:13], v[24:25], v[8:9]
	global_store_b64 v[12:13], v[16:17], off
	global_wb scope:SCOPE_SYS
	s_wait_storecnt 0x0
	s_wait_xcnt 0x0
	global_atomic_cmpswap_b64 v[10:11], v5, v[14:17], s[2:3] offset:32 th:TH_ATOMIC_RETURN scope:SCOPE_SYS
	s_wait_loadcnt 0x0
	v_cmpx_ne_u64_e64 v[10:11], v[16:17]
	s_cbranch_execz .LBB3_94
; %bb.92:                               ;   in Loop: Header=BB3_33 Depth=1
	s_mov_b32 s13, 0
.LBB3_93:                               ;   Parent Loop BB3_33 Depth=1
                                        ; =>  This Inner Loop Header: Depth=2
	v_dual_mov_b32 v8, s10 :: v_dual_mov_b32 v9, s11
	s_sleep 1
	global_store_b64 v[12:13], v[10:11], off
	global_wb scope:SCOPE_SYS
	s_wait_storecnt 0x0
	s_wait_xcnt 0x0
	global_atomic_cmpswap_b64 v[8:9], v5, v[8:11], s[2:3] offset:32 th:TH_ATOMIC_RETURN scope:SCOPE_SYS
	s_wait_loadcnt 0x0
	v_cmp_eq_u64_e32 vcc_lo, v[8:9], v[10:11]
	v_mov_b64_e32 v[10:11], v[8:9]
	s_or_b32 s13, vcc_lo, s13
	s_delay_alu instid0(SALU_CYCLE_1)
	s_and_not1_b32 exec_lo, exec_lo, s13
	s_cbranch_execnz .LBB3_93
.LBB3_94:                               ;   in Loop: Header=BB3_33 Depth=1
	s_or_b32 exec_lo, exec_lo, s12
	global_load_b64 v[8:9], v5, s[2:3] offset:16
	s_mov_b32 s13, exec_lo
	s_mov_b32 s12, exec_lo
	v_mbcnt_lo_u32_b32 v1, s13, 0
	s_wait_xcnt 0x0
	s_delay_alu instid0(VALU_DEP_1)
	v_cmpx_eq_u32_e32 0, v1
	s_cbranch_execz .LBB3_96
; %bb.95:                               ;   in Loop: Header=BB3_33 Depth=1
	s_bcnt1_i32_b32 s13, s13
	s_delay_alu instid0(SALU_CYCLE_1)
	v_mov_b32_e32 v4, s13
	global_wb scope:SCOPE_SYS
	s_wait_loadcnt 0x0
	s_wait_storecnt 0x0
	global_atomic_add_u64 v[8:9], v[4:5], off offset:8 scope:SCOPE_SYS
.LBB3_96:                               ;   in Loop: Header=BB3_33 Depth=1
	s_wait_xcnt 0x0
	s_or_b32 exec_lo, exec_lo, s12
	s_wait_loadcnt 0x0
	global_load_b64 v[10:11], v[8:9], off offset:16
	s_wait_loadcnt 0x0
	v_cmp_eq_u64_e32 vcc_lo, 0, v[10:11]
	s_cbranch_vccnz .LBB3_98
; %bb.97:                               ;   in Loop: Header=BB3_33 Depth=1
	global_load_b32 v4, v[8:9], off offset:24
	s_wait_loadcnt 0x0
	v_readfirstlane_b32 s12, v4
	global_wb scope:SCOPE_SYS
	s_wait_storecnt 0x0
	s_wait_xcnt 0x0
	global_store_b64 v[10:11], v[4:5], off scope:SCOPE_SYS
	s_and_b32 m0, s12, 0xffffff
	s_sendmsg sendmsg(MSG_INTERRUPT)
.LBB3_98:                               ;   in Loop: Header=BB3_33 Depth=1
	s_wait_xcnt 0x0
	s_or_b32 exec_lo, exec_lo, s1
	v_mov_b32_e32 v1, v5
	s_delay_alu instid0(VALU_DEP_1)
	v_add_nc_u64_e32 v[8:9], v[26:27], v[0:1]
	s_branch .LBB3_102
.LBB3_99:                               ;   in Loop: Header=BB3_102 Depth=2
	s_wait_xcnt 0x0
	s_or_b32 exec_lo, exec_lo, s1
	s_delay_alu instid0(VALU_DEP_1)
	v_readfirstlane_b32 s1, v1
	s_cmp_eq_u32 s1, 0
	s_cbranch_scc1 .LBB3_101
; %bb.100:                              ;   in Loop: Header=BB3_102 Depth=2
	s_sleep 1
	s_cbranch_execnz .LBB3_102
	s_branch .LBB3_104
.LBB3_101:                              ;   in Loop: Header=BB3_33 Depth=1
	s_branch .LBB3_104
.LBB3_102:                              ;   Parent Loop BB3_33 Depth=1
                                        ; =>  This Inner Loop Header: Depth=2
	v_mov_b32_e32 v1, 1
	s_and_saveexec_b32 s1, s0
	s_cbranch_execz .LBB3_99
; %bb.103:                              ;   in Loop: Header=BB3_102 Depth=2
	global_load_b32 v1, v[28:29], off offset:20 scope:SCOPE_SYS
	s_wait_loadcnt 0x0
	global_inv scope:SCOPE_SYS
	v_and_b32_e32 v1, 1, v1
	s_branch .LBB3_99
.LBB3_104:                              ;   in Loop: Header=BB3_33 Depth=1
	global_load_b128 v[8:11], v[8:9], off
	s_wait_xcnt 0x0
	s_and_saveexec_b32 s12, s0
	s_cbranch_execz .LBB3_32
; %bb.105:                              ;   in Loop: Header=BB3_33 Depth=1
	s_wait_loadcnt 0x0
	s_clause 0x2
	global_load_b64 v[10:11], v5, s[2:3] offset:40
	global_load_b64 v[18:19], v5, s[2:3] offset:24 scope:SCOPE_SYS
	global_load_b64 v[12:13], v5, s[2:3]
	s_wait_loadcnt 0x2
	v_readfirstlane_b32 s14, v10
	v_readfirstlane_b32 s15, v11
	s_add_nc_u64 s[0:1], s[14:15], 1
	s_delay_alu instid0(SALU_CYCLE_1) | instskip(NEXT) | instid1(SALU_CYCLE_1)
	s_add_nc_u64 s[10:11], s[0:1], s[10:11]
	s_cmp_eq_u64 s[10:11], 0
	s_cselect_b32 s1, s1, s11
	s_cselect_b32 s0, s0, s10
	s_delay_alu instid0(SALU_CYCLE_1) | instskip(SKIP_1) | instid1(SALU_CYCLE_1)
	v_dual_mov_b32 v17, s1 :: v_dual_mov_b32 v16, s0
	s_and_b64 s[10:11], s[0:1], s[14:15]
	s_mul_u64 s[10:11], s[10:11], 24
	s_wait_loadcnt 0x0
	v_add_nc_u64_e32 v[14:15], s[10:11], v[12:13]
	global_store_b64 v[14:15], v[18:19], off
	global_wb scope:SCOPE_SYS
	s_wait_storecnt 0x0
	s_wait_xcnt 0x0
	global_atomic_cmpswap_b64 v[12:13], v5, v[16:19], s[2:3] offset:24 th:TH_ATOMIC_RETURN scope:SCOPE_SYS
	s_wait_loadcnt 0x0
	v_cmp_ne_u64_e32 vcc_lo, v[12:13], v[18:19]
	s_and_b32 exec_lo, exec_lo, vcc_lo
	s_cbranch_execz .LBB3_32
; %bb.106:                              ;   in Loop: Header=BB3_33 Depth=1
	s_mov_b32 s10, 0
.LBB3_107:                              ;   Parent Loop BB3_33 Depth=1
                                        ; =>  This Inner Loop Header: Depth=2
	v_dual_mov_b32 v10, s0 :: v_dual_mov_b32 v11, s1
	s_sleep 1
	global_store_b64 v[14:15], v[12:13], off
	global_wb scope:SCOPE_SYS
	s_wait_storecnt 0x0
	s_wait_xcnt 0x0
	global_atomic_cmpswap_b64 v[10:11], v5, v[10:13], s[2:3] offset:24 th:TH_ATOMIC_RETURN scope:SCOPE_SYS
	s_wait_loadcnt 0x0
	v_cmp_eq_u64_e32 vcc_lo, v[10:11], v[12:13]
	v_mov_b64_e32 v[12:13], v[10:11]
	s_or_b32 s10, vcc_lo, s10
	s_delay_alu instid0(SALU_CYCLE_1)
	s_and_not1_b32 exec_lo, exec_lo, s10
	s_cbranch_execnz .LBB3_107
	s_branch .LBB3_32
.LBB3_108:
	s_branch .LBB3_136
.LBB3_109:
	s_cbranch_execz .LBB3_136
; %bb.110:
	v_readfirstlane_b32 s0, v32
	s_wait_loadcnt 0x0
	v_mov_b64_e32 v[10:11], 0
	s_delay_alu instid0(VALU_DEP_2)
	v_cmp_eq_u32_e64 s0, s0, v32
	s_and_saveexec_b32 s1, s0
	s_cbranch_execz .LBB3_116
; %bb.111:
	v_mov_b32_e32 v1, 0
	s_mov_b32 s4, exec_lo
	global_load_b64 v[6:7], v1, s[2:3] offset:24 scope:SCOPE_SYS
	s_wait_loadcnt 0x0
	global_inv scope:SCOPE_SYS
	s_clause 0x1
	global_load_b64 v[4:5], v1, s[2:3] offset:40
	global_load_b64 v[8:9], v1, s[2:3]
	s_wait_loadcnt 0x1
	v_and_b32_e32 v4, v4, v6
	v_and_b32_e32 v5, v5, v7
	s_delay_alu instid0(VALU_DEP_1) | instskip(SKIP_1) | instid1(VALU_DEP_1)
	v_mul_u64_e32 v[4:5], 24, v[4:5]
	s_wait_loadcnt 0x0
	v_add_nc_u64_e32 v[4:5], v[8:9], v[4:5]
	global_load_b64 v[4:5], v[4:5], off scope:SCOPE_SYS
	s_wait_xcnt 0x0
	s_wait_loadcnt 0x0
	global_atomic_cmpswap_b64 v[10:11], v1, v[4:7], s[2:3] offset:24 th:TH_ATOMIC_RETURN scope:SCOPE_SYS
	s_wait_loadcnt 0x0
	global_inv scope:SCOPE_SYS
	s_wait_xcnt 0x0
	v_cmpx_ne_u64_e64 v[10:11], v[6:7]
	s_cbranch_execz .LBB3_115
; %bb.112:
	s_mov_b32 s5, 0
.LBB3_113:                              ; =>This Inner Loop Header: Depth=1
	s_sleep 1
	s_clause 0x1
	global_load_b64 v[4:5], v1, s[2:3] offset:40
	global_load_b64 v[8:9], v1, s[2:3]
	v_mov_b64_e32 v[6:7], v[10:11]
	s_wait_loadcnt 0x1
	s_delay_alu instid0(VALU_DEP_1) | instskip(SKIP_1) | instid1(VALU_DEP_1)
	v_and_b32_e32 v4, v4, v6
	s_wait_loadcnt 0x0
	v_mad_nc_u64_u32 v[8:9], v4, 24, v[8:9]
	s_delay_alu instid0(VALU_DEP_3) | instskip(NEXT) | instid1(VALU_DEP_1)
	v_and_b32_e32 v4, v5, v7
	v_mad_u32 v9, v4, 24, v9
	global_load_b64 v[4:5], v[8:9], off scope:SCOPE_SYS
	s_wait_xcnt 0x0
	s_wait_loadcnt 0x0
	global_atomic_cmpswap_b64 v[10:11], v1, v[4:7], s[2:3] offset:24 th:TH_ATOMIC_RETURN scope:SCOPE_SYS
	s_wait_loadcnt 0x0
	global_inv scope:SCOPE_SYS
	v_cmp_eq_u64_e32 vcc_lo, v[10:11], v[6:7]
	s_or_b32 s5, vcc_lo, s5
	s_wait_xcnt 0x0
	s_and_not1_b32 exec_lo, exec_lo, s5
	s_cbranch_execnz .LBB3_113
; %bb.114:
	s_or_b32 exec_lo, exec_lo, s5
.LBB3_115:
	s_delay_alu instid0(SALU_CYCLE_1)
	s_or_b32 exec_lo, exec_lo, s4
.LBB3_116:
	s_delay_alu instid0(SALU_CYCLE_1)
	s_or_b32 exec_lo, exec_lo, s1
	v_readfirstlane_b32 s4, v10
	v_mov_b32_e32 v4, 0
	v_readfirstlane_b32 s5, v11
	s_mov_b32 s1, exec_lo
	s_clause 0x1
	global_load_b64 v[12:13], v4, s[2:3] offset:40
	global_load_b128 v[6:9], v4, s[2:3]
	s_wait_loadcnt 0x1
	v_and_b32_e32 v12, s4, v12
	v_and_b32_e32 v13, s5, v13
	s_delay_alu instid0(VALU_DEP_1) | instskip(SKIP_1) | instid1(VALU_DEP_1)
	v_mul_u64_e32 v[10:11], 24, v[12:13]
	s_wait_loadcnt 0x0
	v_add_nc_u64_e32 v[10:11], v[6:7], v[10:11]
	s_wait_xcnt 0x0
	s_and_saveexec_b32 s6, s0
	s_cbranch_execz .LBB3_118
; %bb.117:
	v_mov_b64_e32 v[16:17], 0x100000002
	v_dual_mov_b32 v14, s1 :: v_dual_mov_b32 v15, v4
	global_store_b128 v[10:11], v[14:17], off offset:8
.LBB3_118:
	s_wait_xcnt 0x0
	s_or_b32 exec_lo, exec_lo, s6
	v_lshlrev_b64_e32 v[12:13], 12, v[12:13]
	s_mov_b32 s8, 0
	v_and_or_b32 v2, 0xffffff1d, v2, 34
	s_mov_b32 s10, s8
	s_mov_b32 s11, s8
	;; [unrolled: 1-line block ×3, first 2 shown]
	v_mov_b32_e32 v5, v4
	v_add_nc_u64_e32 v[8:9], v[8:9], v[12:13]
	v_mov_b64_e32 v[14:15], s[10:11]
	v_mov_b64_e32 v[12:13], s[8:9]
	s_delay_alu instid0(VALU_DEP_3) | instskip(NEXT) | instid1(VALU_DEP_4)
	v_readfirstlane_b32 s6, v8
	v_readfirstlane_b32 s7, v9
	s_clause 0x3
	global_store_b128 v0, v[2:5], s[6:7]
	global_store_b128 v0, v[12:15], s[6:7] offset:16
	global_store_b128 v0, v[12:15], s[6:7] offset:32
	;; [unrolled: 1-line block ×3, first 2 shown]
	s_wait_xcnt 0x0
	s_and_saveexec_b32 s1, s0
	s_cbranch_execz .LBB3_126
; %bb.119:
	v_dual_mov_b32 v8, 0 :: v_dual_mov_b32 v13, s5
	s_mov_b32 s6, exec_lo
	s_clause 0x1
	global_load_b64 v[14:15], v8, s[2:3] offset:32 scope:SCOPE_SYS
	global_load_b64 v[0:1], v8, s[2:3] offset:40
	s_wait_loadcnt 0x0
	v_dual_mov_b32 v12, s4 :: v_dual_bitop2_b32 v1, s5, v1 bitop3:0x40
	v_and_b32_e32 v0, s4, v0
	s_delay_alu instid0(VALU_DEP_1) | instskip(NEXT) | instid1(VALU_DEP_1)
	v_mul_u64_e32 v[0:1], 24, v[0:1]
	v_add_nc_u64_e32 v[4:5], v[6:7], v[0:1]
	global_store_b64 v[4:5], v[14:15], off
	global_wb scope:SCOPE_SYS
	s_wait_storecnt 0x0
	s_wait_xcnt 0x0
	global_atomic_cmpswap_b64 v[2:3], v8, v[12:15], s[2:3] offset:32 th:TH_ATOMIC_RETURN scope:SCOPE_SYS
	s_wait_loadcnt 0x0
	v_cmpx_ne_u64_e64 v[2:3], v[14:15]
	s_cbranch_execz .LBB3_122
; %bb.120:
	s_mov_b32 s7, 0
.LBB3_121:                              ; =>This Inner Loop Header: Depth=1
	v_dual_mov_b32 v0, s4 :: v_dual_mov_b32 v1, s5
	s_sleep 1
	global_store_b64 v[4:5], v[2:3], off
	global_wb scope:SCOPE_SYS
	s_wait_storecnt 0x0
	s_wait_xcnt 0x0
	global_atomic_cmpswap_b64 v[0:1], v8, v[0:3], s[2:3] offset:32 th:TH_ATOMIC_RETURN scope:SCOPE_SYS
	s_wait_loadcnt 0x0
	v_cmp_eq_u64_e32 vcc_lo, v[0:1], v[2:3]
	v_mov_b64_e32 v[2:3], v[0:1]
	s_or_b32 s7, vcc_lo, s7
	s_delay_alu instid0(SALU_CYCLE_1)
	s_and_not1_b32 exec_lo, exec_lo, s7
	s_cbranch_execnz .LBB3_121
.LBB3_122:
	s_or_b32 exec_lo, exec_lo, s6
	v_mov_b32_e32 v3, 0
	s_mov_b32 s7, exec_lo
	s_mov_b32 s6, exec_lo
	v_mbcnt_lo_u32_b32 v2, s7, 0
	global_load_b64 v[0:1], v3, s[2:3] offset:16
	s_wait_xcnt 0x0
	v_cmpx_eq_u32_e32 0, v2
	s_cbranch_execz .LBB3_124
; %bb.123:
	s_bcnt1_i32_b32 s7, s7
	s_delay_alu instid0(SALU_CYCLE_1)
	v_mov_b32_e32 v2, s7
	global_wb scope:SCOPE_SYS
	s_wait_loadcnt 0x0
	s_wait_storecnt 0x0
	global_atomic_add_u64 v[0:1], v[2:3], off offset:8 scope:SCOPE_SYS
.LBB3_124:
	s_wait_xcnt 0x0
	s_or_b32 exec_lo, exec_lo, s6
	s_wait_loadcnt 0x0
	global_load_b64 v[2:3], v[0:1], off offset:16
	s_wait_loadcnt 0x0
	v_cmp_eq_u64_e32 vcc_lo, 0, v[2:3]
	s_cbranch_vccnz .LBB3_126
; %bb.125:
	global_load_b32 v0, v[0:1], off offset:24
	s_wait_xcnt 0x0
	v_mov_b32_e32 v1, 0
	s_wait_loadcnt 0x0
	v_readfirstlane_b32 s6, v0
	global_wb scope:SCOPE_SYS
	s_wait_storecnt 0x0
	global_store_b64 v[2:3], v[0:1], off scope:SCOPE_SYS
	s_and_b32 m0, s6, 0xffffff
	s_sendmsg sendmsg(MSG_INTERRUPT)
.LBB3_126:
	s_wait_xcnt 0x0
	s_or_b32 exec_lo, exec_lo, s1
	s_branch .LBB3_130
.LBB3_127:                              ;   in Loop: Header=BB3_130 Depth=1
	s_wait_xcnt 0x0
	s_or_b32 exec_lo, exec_lo, s1
	s_delay_alu instid0(VALU_DEP_1)
	v_readfirstlane_b32 s1, v0
	s_cmp_eq_u32 s1, 0
	s_cbranch_scc1 .LBB3_129
; %bb.128:                              ;   in Loop: Header=BB3_130 Depth=1
	s_sleep 1
	s_cbranch_execnz .LBB3_130
	s_branch .LBB3_132
.LBB3_129:
	s_branch .LBB3_132
.LBB3_130:                              ; =>This Inner Loop Header: Depth=1
	v_mov_b32_e32 v0, 1
	s_and_saveexec_b32 s1, s0
	s_cbranch_execz .LBB3_127
; %bb.131:                              ;   in Loop: Header=BB3_130 Depth=1
	global_load_b32 v0, v[10:11], off offset:20 scope:SCOPE_SYS
	s_wait_loadcnt 0x0
	global_inv scope:SCOPE_SYS
	v_and_b32_e32 v0, 1, v0
	s_branch .LBB3_127
.LBB3_132:
	s_and_saveexec_b32 s1, s0
	s_cbranch_execz .LBB3_136
; %bb.133:
	v_mov_b32_e32 v6, 0
	s_clause 0x2
	global_load_b64 v[0:1], v6, s[2:3] offset:40
	global_load_b64 v[10:11], v6, s[2:3] offset:24 scope:SCOPE_SYS
	global_load_b64 v[2:3], v6, s[2:3]
	s_wait_loadcnt 0x2
	v_readfirstlane_b32 s6, v0
	v_readfirstlane_b32 s7, v1
	s_add_nc_u64 s[0:1], s[6:7], 1
	s_delay_alu instid0(SALU_CYCLE_1) | instskip(NEXT) | instid1(SALU_CYCLE_1)
	s_add_nc_u64 s[4:5], s[0:1], s[4:5]
	s_cmp_eq_u64 s[4:5], 0
	s_cselect_b32 s1, s1, s5
	s_cselect_b32 s0, s0, s4
	v_mov_b32_e32 v9, s1
	s_and_b64 s[4:5], s[0:1], s[6:7]
	v_mov_b32_e32 v8, s0
	s_mul_u64 s[4:5], s[4:5], 24
	s_wait_loadcnt 0x0
	v_add_nc_u64_e32 v[4:5], s[4:5], v[2:3]
	global_store_b64 v[4:5], v[10:11], off
	global_wb scope:SCOPE_SYS
	s_wait_storecnt 0x0
	s_wait_xcnt 0x0
	global_atomic_cmpswap_b64 v[2:3], v6, v[8:11], s[2:3] offset:24 th:TH_ATOMIC_RETURN scope:SCOPE_SYS
	s_wait_loadcnt 0x0
	v_cmp_ne_u64_e32 vcc_lo, v[2:3], v[10:11]
	s_and_b32 exec_lo, exec_lo, vcc_lo
	s_cbranch_execz .LBB3_136
; %bb.134:
	s_mov_b32 s4, 0
.LBB3_135:                              ; =>This Inner Loop Header: Depth=1
	v_dual_mov_b32 v0, s0 :: v_dual_mov_b32 v1, s1
	s_sleep 1
	global_store_b64 v[4:5], v[2:3], off
	global_wb scope:SCOPE_SYS
	s_wait_storecnt 0x0
	s_wait_xcnt 0x0
	global_atomic_cmpswap_b64 v[0:1], v6, v[0:3], s[2:3] offset:24 th:TH_ATOMIC_RETURN scope:SCOPE_SYS
	s_wait_loadcnt 0x0
	v_cmp_eq_u64_e32 vcc_lo, v[0:1], v[2:3]
	v_mov_b64_e32 v[2:3], v[0:1]
	s_or_b32 s4, vcc_lo, s4
	s_delay_alu instid0(SALU_CYCLE_1)
	s_and_not1_b32 exec_lo, exec_lo, s4
	s_cbranch_execnz .LBB3_135
.LBB3_136:
	s_endpgm
	.section	.rodata,"a",@progbits
	.p2align	6, 0x0
	.amdhsa_kernel _ZN2at6native30tinygemm_m16n8k16_chunk_kernelINS0_10ALayout_RMILNS0_14KReductionTypeE0EEENS0_15BLayout_TC_int4ILi2ELi64EEES4_Li8ELi8EEEvPKvS8_S8_Pviiiiii
		.amdhsa_group_segment_fixed_size 0
		.amdhsa_private_segment_fixed_size 0
		.amdhsa_kernarg_size 312
		.amdhsa_user_sgpr_count 2
		.amdhsa_user_sgpr_dispatch_ptr 0
		.amdhsa_user_sgpr_queue_ptr 0
		.amdhsa_user_sgpr_kernarg_segment_ptr 1
		.amdhsa_user_sgpr_dispatch_id 0
		.amdhsa_user_sgpr_kernarg_preload_length 0
		.amdhsa_user_sgpr_kernarg_preload_offset 0
		.amdhsa_user_sgpr_private_segment_size 0
		.amdhsa_wavefront_size32 1
		.amdhsa_uses_dynamic_stack 0
		.amdhsa_enable_private_segment 0
		.amdhsa_system_sgpr_workgroup_id_x 1
		.amdhsa_system_sgpr_workgroup_id_y 0
		.amdhsa_system_sgpr_workgroup_id_z 0
		.amdhsa_system_sgpr_workgroup_info 0
		.amdhsa_system_vgpr_workitem_id 0
		.amdhsa_next_free_vgpr 33
		.amdhsa_next_free_sgpr 18
		.amdhsa_named_barrier_count 0
		.amdhsa_reserve_vcc 1
		.amdhsa_float_round_mode_32 0
		.amdhsa_float_round_mode_16_64 0
		.amdhsa_float_denorm_mode_32 3
		.amdhsa_float_denorm_mode_16_64 3
		.amdhsa_fp16_overflow 0
		.amdhsa_memory_ordered 1
		.amdhsa_forward_progress 1
		.amdhsa_inst_pref_size 43
		.amdhsa_round_robin_scheduling 0
		.amdhsa_exception_fp_ieee_invalid_op 0
		.amdhsa_exception_fp_denorm_src 0
		.amdhsa_exception_fp_ieee_div_zero 0
		.amdhsa_exception_fp_ieee_overflow 0
		.amdhsa_exception_fp_ieee_underflow 0
		.amdhsa_exception_fp_ieee_inexact 0
		.amdhsa_exception_int_div_zero 0
	.end_amdhsa_kernel
	.section	.text._ZN2at6native30tinygemm_m16n8k16_chunk_kernelINS0_10ALayout_RMILNS0_14KReductionTypeE0EEENS0_15BLayout_TC_int4ILi2ELi64EEES4_Li8ELi8EEEvPKvS8_S8_Pviiiiii,"axG",@progbits,_ZN2at6native30tinygemm_m16n8k16_chunk_kernelINS0_10ALayout_RMILNS0_14KReductionTypeE0EEENS0_15BLayout_TC_int4ILi2ELi64EEES4_Li8ELi8EEEvPKvS8_S8_Pviiiiii,comdat
.Lfunc_end3:
	.size	_ZN2at6native30tinygemm_m16n8k16_chunk_kernelINS0_10ALayout_RMILNS0_14KReductionTypeE0EEENS0_15BLayout_TC_int4ILi2ELi64EEES4_Li8ELi8EEEvPKvS8_S8_Pviiiiii, .Lfunc_end3-_ZN2at6native30tinygemm_m16n8k16_chunk_kernelINS0_10ALayout_RMILNS0_14KReductionTypeE0EEENS0_15BLayout_TC_int4ILi2ELi64EEES4_Li8ELi8EEEvPKvS8_S8_Pviiiiii
                                        ; -- End function
	.set _ZN2at6native30tinygemm_m16n8k16_chunk_kernelINS0_10ALayout_RMILNS0_14KReductionTypeE0EEENS0_15BLayout_TC_int4ILi2ELi64EEES4_Li8ELi8EEEvPKvS8_S8_Pviiiiii.num_vgpr, 33
	.set _ZN2at6native30tinygemm_m16n8k16_chunk_kernelINS0_10ALayout_RMILNS0_14KReductionTypeE0EEENS0_15BLayout_TC_int4ILi2ELi64EEES4_Li8ELi8EEEvPKvS8_S8_Pviiiiii.num_agpr, 0
	.set _ZN2at6native30tinygemm_m16n8k16_chunk_kernelINS0_10ALayout_RMILNS0_14KReductionTypeE0EEENS0_15BLayout_TC_int4ILi2ELi64EEES4_Li8ELi8EEEvPKvS8_S8_Pviiiiii.numbered_sgpr, 18
	.set _ZN2at6native30tinygemm_m16n8k16_chunk_kernelINS0_10ALayout_RMILNS0_14KReductionTypeE0EEENS0_15BLayout_TC_int4ILi2ELi64EEES4_Li8ELi8EEEvPKvS8_S8_Pviiiiii.num_named_barrier, 0
	.set _ZN2at6native30tinygemm_m16n8k16_chunk_kernelINS0_10ALayout_RMILNS0_14KReductionTypeE0EEENS0_15BLayout_TC_int4ILi2ELi64EEES4_Li8ELi8EEEvPKvS8_S8_Pviiiiii.private_seg_size, 0
	.set _ZN2at6native30tinygemm_m16n8k16_chunk_kernelINS0_10ALayout_RMILNS0_14KReductionTypeE0EEENS0_15BLayout_TC_int4ILi2ELi64EEES4_Li8ELi8EEEvPKvS8_S8_Pviiiiii.uses_vcc, 1
	.set _ZN2at6native30tinygemm_m16n8k16_chunk_kernelINS0_10ALayout_RMILNS0_14KReductionTypeE0EEENS0_15BLayout_TC_int4ILi2ELi64EEES4_Li8ELi8EEEvPKvS8_S8_Pviiiiii.uses_flat_scratch, 0
	.set _ZN2at6native30tinygemm_m16n8k16_chunk_kernelINS0_10ALayout_RMILNS0_14KReductionTypeE0EEENS0_15BLayout_TC_int4ILi2ELi64EEES4_Li8ELi8EEEvPKvS8_S8_Pviiiiii.has_dyn_sized_stack, 0
	.set _ZN2at6native30tinygemm_m16n8k16_chunk_kernelINS0_10ALayout_RMILNS0_14KReductionTypeE0EEENS0_15BLayout_TC_int4ILi2ELi64EEES4_Li8ELi8EEEvPKvS8_S8_Pviiiiii.has_recursion, 0
	.set _ZN2at6native30tinygemm_m16n8k16_chunk_kernelINS0_10ALayout_RMILNS0_14KReductionTypeE0EEENS0_15BLayout_TC_int4ILi2ELi64EEES4_Li8ELi8EEEvPKvS8_S8_Pviiiiii.has_indirect_call, 0
	.section	.AMDGPU.csdata,"",@progbits
; Kernel info:
; codeLenInByte = 5440
; TotalNumSgprs: 20
; NumVgprs: 33
; ScratchSize: 0
; MemoryBound: 0
; FloatMode: 240
; IeeeMode: 1
; LDSByteSize: 0 bytes/workgroup (compile time only)
; SGPRBlocks: 0
; VGPRBlocks: 2
; NumSGPRsForWavesPerEU: 20
; NumVGPRsForWavesPerEU: 33
; NamedBarCnt: 0
; Occupancy: 16
; WaveLimiterHint : 1
; COMPUTE_PGM_RSRC2:SCRATCH_EN: 0
; COMPUTE_PGM_RSRC2:USER_SGPR: 2
; COMPUTE_PGM_RSRC2:TRAP_HANDLER: 0
; COMPUTE_PGM_RSRC2:TGID_X_EN: 1
; COMPUTE_PGM_RSRC2:TGID_Y_EN: 0
; COMPUTE_PGM_RSRC2:TGID_Z_EN: 0
; COMPUTE_PGM_RSRC2:TIDIG_COMP_CNT: 0
	.section	.text._ZN2at6native30tinygemm_m16n8k16_chunk_kernelINS0_10ALayout_RMILNS0_14KReductionTypeE0EEENS0_15BLayout_TC_int4ILi4ELi64EEES4_Li8ELi8EEEvPKvS8_S8_Pviiiiii,"axG",@progbits,_ZN2at6native30tinygemm_m16n8k16_chunk_kernelINS0_10ALayout_RMILNS0_14KReductionTypeE0EEENS0_15BLayout_TC_int4ILi4ELi64EEES4_Li8ELi8EEEvPKvS8_S8_Pviiiiii,comdat
	.protected	_ZN2at6native30tinygemm_m16n8k16_chunk_kernelINS0_10ALayout_RMILNS0_14KReductionTypeE0EEENS0_15BLayout_TC_int4ILi4ELi64EEES4_Li8ELi8EEEvPKvS8_S8_Pviiiiii ; -- Begin function _ZN2at6native30tinygemm_m16n8k16_chunk_kernelINS0_10ALayout_RMILNS0_14KReductionTypeE0EEENS0_15BLayout_TC_int4ILi4ELi64EEES4_Li8ELi8EEEvPKvS8_S8_Pviiiiii
	.globl	_ZN2at6native30tinygemm_m16n8k16_chunk_kernelINS0_10ALayout_RMILNS0_14KReductionTypeE0EEENS0_15BLayout_TC_int4ILi4ELi64EEES4_Li8ELi8EEEvPKvS8_S8_Pviiiiii
	.p2align	8
	.type	_ZN2at6native30tinygemm_m16n8k16_chunk_kernelINS0_10ALayout_RMILNS0_14KReductionTypeE0EEENS0_15BLayout_TC_int4ILi4ELi64EEES4_Li8ELi8EEEvPKvS8_S8_Pviiiiii,@function
_ZN2at6native30tinygemm_m16n8k16_chunk_kernelINS0_10ALayout_RMILNS0_14KReductionTypeE0EEENS0_15BLayout_TC_int4ILi4ELi64EEES4_Li8ELi8EEEvPKvS8_S8_Pviiiiii: ; @_ZN2at6native30tinygemm_m16n8k16_chunk_kernelINS0_10ALayout_RMILNS0_14KReductionTypeE0EEENS0_15BLayout_TC_int4ILi4ELi64EEES4_Li8ELi8EEEvPKvS8_S8_Pviiiiii
; %bb.0:
	s_load_b64 s[2:3], s[0:1], 0x88
	v_mbcnt_lo_u32_b32 v32, -1, 0
	v_mov_b64_e32 v[2:3], 0
	s_wait_xcnt 0x0
	s_delay_alu instid0(VALU_DEP_2) | instskip(NEXT) | instid1(VALU_DEP_1)
	v_readfirstlane_b32 s0, v32
	v_cmp_eq_u32_e64 s0, s0, v32
	s_and_saveexec_b32 s1, s0
	s_cbranch_execz .LBB4_6
; %bb.1:
	v_mov_b32_e32 v0, 0
	s_mov_b32 s4, exec_lo
	s_wait_kmcnt 0x0
	global_load_b64 v[4:5], v0, s[2:3] offset:24 scope:SCOPE_SYS
	s_wait_loadcnt 0x0
	global_inv scope:SCOPE_SYS
	s_clause 0x1
	global_load_b64 v[2:3], v0, s[2:3] offset:40
	global_load_b64 v[6:7], v0, s[2:3]
	s_wait_loadcnt 0x1
	v_and_b32_e32 v2, v2, v4
	v_and_b32_e32 v3, v3, v5
	s_delay_alu instid0(VALU_DEP_1) | instskip(SKIP_1) | instid1(VALU_DEP_1)
	v_mul_u64_e32 v[2:3], 24, v[2:3]
	s_wait_loadcnt 0x0
	v_add_nc_u64_e32 v[2:3], v[6:7], v[2:3]
	global_load_b64 v[2:3], v[2:3], off scope:SCOPE_SYS
	s_wait_xcnt 0x0
	s_wait_loadcnt 0x0
	global_atomic_cmpswap_b64 v[2:3], v0, v[2:5], s[2:3] offset:24 th:TH_ATOMIC_RETURN scope:SCOPE_SYS
	s_wait_loadcnt 0x0
	global_inv scope:SCOPE_SYS
	s_wait_xcnt 0x0
	v_cmpx_ne_u64_e64 v[2:3], v[4:5]
	s_cbranch_execz .LBB4_5
; %bb.2:
	s_mov_b32 s5, 0
.LBB4_3:                                ; =>This Inner Loop Header: Depth=1
	s_sleep 1
	s_clause 0x1
	global_load_b64 v[6:7], v0, s[2:3] offset:40
	global_load_b64 v[8:9], v0, s[2:3]
	v_mov_b64_e32 v[4:5], v[2:3]
	s_wait_loadcnt 0x1
	s_delay_alu instid0(VALU_DEP_1) | instskip(SKIP_1) | instid1(VALU_DEP_1)
	v_and_b32_e32 v1, v6, v4
	s_wait_loadcnt 0x0
	v_mad_nc_u64_u32 v[2:3], v1, 24, v[8:9]
	s_delay_alu instid0(VALU_DEP_3) | instskip(NEXT) | instid1(VALU_DEP_1)
	v_and_b32_e32 v1, v7, v5
	v_mad_u32 v3, v1, 24, v3
	global_load_b64 v[2:3], v[2:3], off scope:SCOPE_SYS
	s_wait_xcnt 0x0
	s_wait_loadcnt 0x0
	global_atomic_cmpswap_b64 v[2:3], v0, v[2:5], s[2:3] offset:24 th:TH_ATOMIC_RETURN scope:SCOPE_SYS
	s_wait_loadcnt 0x0
	global_inv scope:SCOPE_SYS
	v_cmp_eq_u64_e32 vcc_lo, v[2:3], v[4:5]
	s_or_b32 s5, vcc_lo, s5
	s_wait_xcnt 0x0
	s_and_not1_b32 exec_lo, exec_lo, s5
	s_cbranch_execnz .LBB4_3
; %bb.4:
	s_or_b32 exec_lo, exec_lo, s5
.LBB4_5:
	s_delay_alu instid0(SALU_CYCLE_1)
	s_or_b32 exec_lo, exec_lo, s4
.LBB4_6:
	s_delay_alu instid0(SALU_CYCLE_1)
	s_or_b32 exec_lo, exec_lo, s1
	v_readfirstlane_b32 s4, v2
	v_mov_b32_e32 v1, 0
	v_readfirstlane_b32 s5, v3
	s_mov_b32 s1, exec_lo
	s_wait_kmcnt 0x0
	s_clause 0x1
	global_load_b64 v[8:9], v1, s[2:3] offset:40
	global_load_b128 v[4:7], v1, s[2:3]
	s_wait_loadcnt 0x1
	v_and_b32_e32 v10, s4, v8
	v_and_b32_e32 v11, s5, v9
	s_delay_alu instid0(VALU_DEP_1) | instskip(SKIP_1) | instid1(VALU_DEP_1)
	v_mul_u64_e32 v[2:3], 24, v[10:11]
	s_wait_loadcnt 0x0
	v_add_nc_u64_e32 v[8:9], v[4:5], v[2:3]
	s_and_saveexec_b32 s6, s0
	s_cbranch_execz .LBB4_8
; %bb.7:
	v_mov_b64_e32 v[2:3], 0x100000002
	v_mov_b32_e32 v0, s1
	global_store_b128 v[8:9], v[0:3], off offset:8
.LBB4_8:
	s_wait_xcnt 0x0
	s_or_b32 exec_lo, exec_lo, s6
	v_lshlrev_b64_e32 v[2:3], 12, v[10:11]
	s_mov_b32 s8, 0
	v_dual_lshlrev_b32 v0, 6, v32 :: v_dual_mov_b32 v10, 33
	s_mov_b32 s10, s8
	s_mov_b32 s11, s8
	;; [unrolled: 1-line block ×3, first 2 shown]
	s_delay_alu instid0(VALU_DEP_2)
	v_add_nc_u64_e32 v[6:7], v[6:7], v[2:3]
	v_mov_b64_e32 v[16:17], s[10:11]
	v_mov_b64_e32 v[14:15], s[8:9]
	v_dual_mov_b32 v11, v1 :: v_dual_mov_b32 v12, v1
	v_mov_b32_e32 v13, v1
	v_readfirstlane_b32 s6, v6
	v_readfirstlane_b32 s7, v7
	s_clause 0x3
	global_store_b128 v0, v[10:13], s[6:7]
	global_store_b128 v0, v[14:17], s[6:7] offset:16
	global_store_b128 v0, v[14:17], s[6:7] offset:32
	;; [unrolled: 1-line block ×3, first 2 shown]
	s_wait_xcnt 0x0
	s_and_saveexec_b32 s1, s0
	s_cbranch_execz .LBB4_16
; %bb.9:
	v_dual_mov_b32 v12, 0 :: v_dual_mov_b32 v15, s5
	s_mov_b32 s6, exec_lo
	s_clause 0x1
	global_load_b64 v[16:17], v12, s[2:3] offset:32 scope:SCOPE_SYS
	global_load_b64 v[2:3], v12, s[2:3] offset:40
	s_wait_loadcnt 0x0
	v_dual_mov_b32 v14, s4 :: v_dual_bitop2_b32 v3, s5, v3 bitop3:0x40
	v_and_b32_e32 v2, s4, v2
	s_delay_alu instid0(VALU_DEP_1) | instskip(NEXT) | instid1(VALU_DEP_1)
	v_mul_u64_e32 v[2:3], 24, v[2:3]
	v_add_nc_u64_e32 v[10:11], v[4:5], v[2:3]
	global_store_b64 v[10:11], v[16:17], off
	global_wb scope:SCOPE_SYS
	s_wait_storecnt 0x0
	s_wait_xcnt 0x0
	global_atomic_cmpswap_b64 v[4:5], v12, v[14:17], s[2:3] offset:32 th:TH_ATOMIC_RETURN scope:SCOPE_SYS
	s_wait_loadcnt 0x0
	v_cmpx_ne_u64_e64 v[4:5], v[16:17]
	s_cbranch_execz .LBB4_12
; %bb.10:
	s_mov_b32 s7, 0
.LBB4_11:                               ; =>This Inner Loop Header: Depth=1
	v_dual_mov_b32 v2, s4 :: v_dual_mov_b32 v3, s5
	s_sleep 1
	global_store_b64 v[10:11], v[4:5], off
	global_wb scope:SCOPE_SYS
	s_wait_storecnt 0x0
	s_wait_xcnt 0x0
	global_atomic_cmpswap_b64 v[2:3], v12, v[2:5], s[2:3] offset:32 th:TH_ATOMIC_RETURN scope:SCOPE_SYS
	s_wait_loadcnt 0x0
	v_cmp_eq_u64_e32 vcc_lo, v[2:3], v[4:5]
	v_mov_b64_e32 v[4:5], v[2:3]
	s_or_b32 s7, vcc_lo, s7
	s_delay_alu instid0(SALU_CYCLE_1)
	s_and_not1_b32 exec_lo, exec_lo, s7
	s_cbranch_execnz .LBB4_11
.LBB4_12:
	s_or_b32 exec_lo, exec_lo, s6
	v_mov_b32_e32 v5, 0
	s_mov_b32 s7, exec_lo
	s_mov_b32 s6, exec_lo
	v_mbcnt_lo_u32_b32 v4, s7, 0
	global_load_b64 v[2:3], v5, s[2:3] offset:16
	s_wait_xcnt 0x0
	v_cmpx_eq_u32_e32 0, v4
	s_cbranch_execz .LBB4_14
; %bb.13:
	s_bcnt1_i32_b32 s7, s7
	s_delay_alu instid0(SALU_CYCLE_1)
	v_mov_b32_e32 v4, s7
	global_wb scope:SCOPE_SYS
	s_wait_loadcnt 0x0
	s_wait_storecnt 0x0
	global_atomic_add_u64 v[2:3], v[4:5], off offset:8 scope:SCOPE_SYS
.LBB4_14:
	s_wait_xcnt 0x0
	s_or_b32 exec_lo, exec_lo, s6
	s_wait_loadcnt 0x0
	global_load_b64 v[4:5], v[2:3], off offset:16
	s_wait_loadcnt 0x0
	v_cmp_eq_u64_e32 vcc_lo, 0, v[4:5]
	s_cbranch_vccnz .LBB4_16
; %bb.15:
	global_load_b32 v2, v[2:3], off offset:24
	s_wait_xcnt 0x0
	v_mov_b32_e32 v3, 0
	s_wait_loadcnt 0x0
	v_readfirstlane_b32 s6, v2
	global_wb scope:SCOPE_SYS
	s_wait_storecnt 0x0
	global_store_b64 v[4:5], v[2:3], off scope:SCOPE_SYS
	s_and_b32 m0, s6, 0xffffff
	s_sendmsg sendmsg(MSG_INTERRUPT)
.LBB4_16:
	s_wait_xcnt 0x0
	s_or_b32 exec_lo, exec_lo, s1
	v_add_nc_u64_e32 v[2:3], v[6:7], v[0:1]
	s_branch .LBB4_20
.LBB4_17:                               ;   in Loop: Header=BB4_20 Depth=1
	s_wait_xcnt 0x0
	s_or_b32 exec_lo, exec_lo, s1
	s_delay_alu instid0(VALU_DEP_1)
	v_readfirstlane_b32 s1, v1
	s_cmp_eq_u32 s1, 0
	s_cbranch_scc1 .LBB4_19
; %bb.18:                               ;   in Loop: Header=BB4_20 Depth=1
	s_sleep 1
	s_cbranch_execnz .LBB4_20
	s_branch .LBB4_22
.LBB4_19:
	s_branch .LBB4_22
.LBB4_20:                               ; =>This Inner Loop Header: Depth=1
	v_mov_b32_e32 v1, 1
	s_and_saveexec_b32 s1, s0
	s_cbranch_execz .LBB4_17
; %bb.21:                               ;   in Loop: Header=BB4_20 Depth=1
	global_load_b32 v1, v[8:9], off offset:20 scope:SCOPE_SYS
	s_wait_loadcnt 0x0
	global_inv scope:SCOPE_SYS
	v_and_b32_e32 v1, 1, v1
	s_branch .LBB4_17
.LBB4_22:
	global_load_b64 v[2:3], v[2:3], off
	s_wait_xcnt 0x0
	s_and_saveexec_b32 s6, s0
	s_cbranch_execz .LBB4_26
; %bb.23:
	v_mov_b32_e32 v1, 0
	s_clause 0x2
	global_load_b64 v[4:5], v1, s[2:3] offset:40
	global_load_b64 v[12:13], v1, s[2:3] offset:24 scope:SCOPE_SYS
	global_load_b64 v[6:7], v1, s[2:3]
	s_wait_loadcnt 0x2
	v_readfirstlane_b32 s8, v4
	v_readfirstlane_b32 s9, v5
	s_add_nc_u64 s[0:1], s[8:9], 1
	s_delay_alu instid0(SALU_CYCLE_1) | instskip(NEXT) | instid1(SALU_CYCLE_1)
	s_add_nc_u64 s[4:5], s[0:1], s[4:5]
	s_cmp_eq_u64 s[4:5], 0
	s_cselect_b32 s1, s1, s5
	s_cselect_b32 s0, s0, s4
	v_mov_b32_e32 v11, s1
	s_and_b64 s[4:5], s[0:1], s[8:9]
	v_mov_b32_e32 v10, s0
	s_mul_u64 s[4:5], s[4:5], 24
	s_wait_loadcnt 0x0
	v_add_nc_u64_e32 v[8:9], s[4:5], v[6:7]
	global_store_b64 v[8:9], v[12:13], off
	global_wb scope:SCOPE_SYS
	s_wait_storecnt 0x0
	s_wait_xcnt 0x0
	global_atomic_cmpswap_b64 v[6:7], v1, v[10:13], s[2:3] offset:24 th:TH_ATOMIC_RETURN scope:SCOPE_SYS
	s_wait_loadcnt 0x0
	v_cmp_ne_u64_e32 vcc_lo, v[6:7], v[12:13]
	s_and_b32 exec_lo, exec_lo, vcc_lo
	s_cbranch_execz .LBB4_26
; %bb.24:
	s_mov_b32 s4, 0
.LBB4_25:                               ; =>This Inner Loop Header: Depth=1
	v_dual_mov_b32 v4, s0 :: v_dual_mov_b32 v5, s1
	s_sleep 1
	global_store_b64 v[8:9], v[6:7], off
	global_wb scope:SCOPE_SYS
	s_wait_storecnt 0x0
	s_wait_xcnt 0x0
	global_atomic_cmpswap_b64 v[4:5], v1, v[4:7], s[2:3] offset:24 th:TH_ATOMIC_RETURN scope:SCOPE_SYS
	s_wait_loadcnt 0x0
	v_cmp_eq_u64_e32 vcc_lo, v[4:5], v[6:7]
	v_mov_b64_e32 v[6:7], v[4:5]
	s_or_b32 s4, vcc_lo, s4
	s_delay_alu instid0(SALU_CYCLE_1)
	s_and_not1_b32 exec_lo, exec_lo, s4
	s_cbranch_execnz .LBB4_25
.LBB4_26:
	s_or_b32 exec_lo, exec_lo, s6
	s_get_pc_i64 s[4:5]
	s_add_nc_u64 s[4:5], s[4:5], .str@rel64+4
	s_mov_b64 s[6:7], 0
	s_cmp_lg_u64 s[4:5], 0
	s_cselect_b32 s8, -1, 0
	s_cmp_eq_u64 s[4:5], 0
	s_cbranch_scc1 .LBB4_30
; %bb.27:
	s_get_pc_i64 s[0:1]
	s_add_nc_u64 s[0:1], s[0:1], .str@rel64+3
.LBB4_28:                               ; =>This Inner Loop Header: Depth=1
	s_load_u8 s6, s[0:1], 0x1
	s_wait_xcnt 0x0
	s_add_nc_u64 s[0:1], s[0:1], 1
	s_wait_kmcnt 0x0
	s_cmp_lg_u32 s6, 0
	s_cbranch_scc1 .LBB4_28
; %bb.29:
	s_get_pc_i64 s[6:7]
	s_add_nc_u64 s[6:7], s[6:7], .str@rel64+4
	s_delay_alu instid0(SALU_CYCLE_1) | instskip(NEXT) | instid1(SALU_CYCLE_1)
	s_sub_nc_u64 s[0:1], s[0:1], s[6:7]
	s_add_nc_u64 s[6:7], s[0:1], 1
.LBB4_30:
	s_and_b32 vcc_lo, exec_lo, s8
	s_cbranch_vccz .LBB4_109
; %bb.31:
	v_mov_b64_e32 v[6:7], 0x100000002
	s_wait_loadcnt 0x0
	v_dual_mov_b32 v9, v3 :: v_dual_bitop2_b32 v8, -3, v2 bitop3:0x40
	v_mov_b32_e32 v5, 0
	s_branch .LBB4_33
.LBB4_32:                               ;   in Loop: Header=BB4_33 Depth=1
	s_or_b32 exec_lo, exec_lo, s12
	s_sub_nc_u64 s[6:7], s[6:7], s[8:9]
	s_add_nc_u64 s[4:5], s[4:5], s[8:9]
	s_cmp_lg_u64 s[6:7], 0
	s_cbranch_scc0 .LBB4_108
.LBB4_33:                               ; =>This Loop Header: Depth=1
                                        ;     Child Loop BB4_36 Depth 2
                                        ;     Child Loop BB4_43 Depth 2
	;; [unrolled: 1-line block ×11, first 2 shown]
	s_wait_loadcnt 0x0
	v_min_u64 v[10:11], s[6:7], 56
	v_cmp_gt_u64_e64 s0, s[6:7], 7
	s_and_b32 vcc_lo, exec_lo, s0
	v_readfirstlane_b32 s8, v10
	v_readfirstlane_b32 s9, v11
	s_cbranch_vccnz .LBB4_38
; %bb.34:                               ;   in Loop: Header=BB4_33 Depth=1
	v_mov_b64_e32 v[10:11], 0
	s_cmp_eq_u64 s[6:7], 0
	s_cbranch_scc1 .LBB4_37
; %bb.35:                               ;   in Loop: Header=BB4_33 Depth=1
	s_mov_b64 s[0:1], 0
	s_mov_b64 s[10:11], 0
.LBB4_36:                               ;   Parent Loop BB4_33 Depth=1
                                        ; =>  This Inner Loop Header: Depth=2
	s_wait_xcnt 0x0
	s_add_nc_u64 s[12:13], s[4:5], s[10:11]
	s_add_nc_u64 s[10:11], s[10:11], 1
	global_load_u8 v1, v5, s[12:13]
	s_cmp_lg_u32 s8, s10
	s_wait_loadcnt 0x0
	v_and_b32_e32 v4, 0xffff, v1
	s_delay_alu instid0(VALU_DEP_1) | instskip(SKIP_1) | instid1(VALU_DEP_1)
	v_lshlrev_b64_e32 v[12:13], s0, v[4:5]
	s_add_nc_u64 s[0:1], s[0:1], 8
	v_or_b32_e32 v10, v12, v10
	s_delay_alu instid0(VALU_DEP_2)
	v_or_b32_e32 v11, v13, v11
	s_cbranch_scc1 .LBB4_36
.LBB4_37:                               ;   in Loop: Header=BB4_33 Depth=1
	s_mov_b64 s[10:11], s[4:5]
	s_mov_b32 s14, 0
	s_cbranch_execz .LBB4_39
	s_branch .LBB4_40
.LBB4_38:                               ;   in Loop: Header=BB4_33 Depth=1
	s_add_nc_u64 s[10:11], s[4:5], 8
	s_mov_b32 s14, 0
.LBB4_39:                               ;   in Loop: Header=BB4_33 Depth=1
	global_load_b64 v[10:11], v5, s[4:5]
	s_add_co_i32 s14, s8, -8
.LBB4_40:                               ;   in Loop: Header=BB4_33 Depth=1
	s_delay_alu instid0(SALU_CYCLE_1)
	s_cmp_gt_u32 s14, 7
	s_cbranch_scc1 .LBB4_45
; %bb.41:                               ;   in Loop: Header=BB4_33 Depth=1
	v_mov_b64_e32 v[12:13], 0
	s_cmp_eq_u32 s14, 0
	s_cbranch_scc1 .LBB4_44
; %bb.42:                               ;   in Loop: Header=BB4_33 Depth=1
	s_mov_b64 s[0:1], 0
	s_wait_xcnt 0x0
	s_mov_b64 s[12:13], 0
.LBB4_43:                               ;   Parent Loop BB4_33 Depth=1
                                        ; =>  This Inner Loop Header: Depth=2
	s_wait_xcnt 0x0
	s_add_nc_u64 s[16:17], s[10:11], s[12:13]
	s_add_nc_u64 s[12:13], s[12:13], 1
	global_load_u8 v1, v5, s[16:17]
	s_cmp_lg_u32 s14, s12
	s_wait_loadcnt 0x0
	v_and_b32_e32 v4, 0xffff, v1
	s_delay_alu instid0(VALU_DEP_1) | instskip(SKIP_1) | instid1(VALU_DEP_1)
	v_lshlrev_b64_e32 v[14:15], s0, v[4:5]
	s_add_nc_u64 s[0:1], s[0:1], 8
	v_or_b32_e32 v12, v14, v12
	s_delay_alu instid0(VALU_DEP_2)
	v_or_b32_e32 v13, v15, v13
	s_cbranch_scc1 .LBB4_43
.LBB4_44:                               ;   in Loop: Header=BB4_33 Depth=1
	s_wait_xcnt 0x0
	s_mov_b64 s[0:1], s[10:11]
	s_mov_b32 s15, 0
	s_cbranch_execz .LBB4_46
	s_branch .LBB4_47
.LBB4_45:                               ;   in Loop: Header=BB4_33 Depth=1
	s_add_nc_u64 s[0:1], s[10:11], 8
	s_wait_xcnt 0x0
                                        ; implicit-def: $vgpr12_vgpr13
	s_mov_b32 s15, 0
.LBB4_46:                               ;   in Loop: Header=BB4_33 Depth=1
	global_load_b64 v[12:13], v5, s[10:11]
	s_add_co_i32 s15, s14, -8
.LBB4_47:                               ;   in Loop: Header=BB4_33 Depth=1
	s_delay_alu instid0(SALU_CYCLE_1)
	s_cmp_gt_u32 s15, 7
	s_cbranch_scc1 .LBB4_52
; %bb.48:                               ;   in Loop: Header=BB4_33 Depth=1
	v_mov_b64_e32 v[14:15], 0
	s_cmp_eq_u32 s15, 0
	s_cbranch_scc1 .LBB4_51
; %bb.49:                               ;   in Loop: Header=BB4_33 Depth=1
	s_wait_xcnt 0x0
	s_mov_b64 s[10:11], 0
	s_mov_b64 s[12:13], 0
.LBB4_50:                               ;   Parent Loop BB4_33 Depth=1
                                        ; =>  This Inner Loop Header: Depth=2
	s_wait_xcnt 0x0
	s_add_nc_u64 s[16:17], s[0:1], s[12:13]
	s_add_nc_u64 s[12:13], s[12:13], 1
	global_load_u8 v1, v5, s[16:17]
	s_cmp_lg_u32 s15, s12
	s_wait_loadcnt 0x0
	v_and_b32_e32 v4, 0xffff, v1
	s_delay_alu instid0(VALU_DEP_1) | instskip(SKIP_1) | instid1(VALU_DEP_1)
	v_lshlrev_b64_e32 v[16:17], s10, v[4:5]
	s_add_nc_u64 s[10:11], s[10:11], 8
	v_or_b32_e32 v14, v16, v14
	s_delay_alu instid0(VALU_DEP_2)
	v_or_b32_e32 v15, v17, v15
	s_cbranch_scc1 .LBB4_50
.LBB4_51:                               ;   in Loop: Header=BB4_33 Depth=1
	s_wait_xcnt 0x0
	s_mov_b64 s[10:11], s[0:1]
	s_mov_b32 s14, 0
	s_cbranch_execz .LBB4_53
	s_branch .LBB4_54
.LBB4_52:                               ;   in Loop: Header=BB4_33 Depth=1
	s_wait_xcnt 0x0
	s_add_nc_u64 s[10:11], s[0:1], 8
	s_mov_b32 s14, 0
.LBB4_53:                               ;   in Loop: Header=BB4_33 Depth=1
	global_load_b64 v[14:15], v5, s[0:1]
	s_add_co_i32 s14, s15, -8
.LBB4_54:                               ;   in Loop: Header=BB4_33 Depth=1
	s_delay_alu instid0(SALU_CYCLE_1)
	s_cmp_gt_u32 s14, 7
	s_cbranch_scc1 .LBB4_59
; %bb.55:                               ;   in Loop: Header=BB4_33 Depth=1
	v_mov_b64_e32 v[16:17], 0
	s_cmp_eq_u32 s14, 0
	s_cbranch_scc1 .LBB4_58
; %bb.56:                               ;   in Loop: Header=BB4_33 Depth=1
	s_wait_xcnt 0x0
	s_mov_b64 s[0:1], 0
	s_mov_b64 s[12:13], 0
.LBB4_57:                               ;   Parent Loop BB4_33 Depth=1
                                        ; =>  This Inner Loop Header: Depth=2
	s_wait_xcnt 0x0
	s_add_nc_u64 s[16:17], s[10:11], s[12:13]
	s_add_nc_u64 s[12:13], s[12:13], 1
	global_load_u8 v1, v5, s[16:17]
	s_cmp_lg_u32 s14, s12
	s_wait_loadcnt 0x0
	v_and_b32_e32 v4, 0xffff, v1
	s_delay_alu instid0(VALU_DEP_1) | instskip(SKIP_1) | instid1(VALU_DEP_1)
	v_lshlrev_b64_e32 v[18:19], s0, v[4:5]
	s_add_nc_u64 s[0:1], s[0:1], 8
	v_or_b32_e32 v16, v18, v16
	s_delay_alu instid0(VALU_DEP_2)
	v_or_b32_e32 v17, v19, v17
	s_cbranch_scc1 .LBB4_57
.LBB4_58:                               ;   in Loop: Header=BB4_33 Depth=1
	s_wait_xcnt 0x0
	s_mov_b64 s[0:1], s[10:11]
	s_mov_b32 s15, 0
	s_cbranch_execz .LBB4_60
	s_branch .LBB4_61
.LBB4_59:                               ;   in Loop: Header=BB4_33 Depth=1
	s_wait_xcnt 0x0
	s_add_nc_u64 s[0:1], s[10:11], 8
                                        ; implicit-def: $vgpr16_vgpr17
	s_mov_b32 s15, 0
.LBB4_60:                               ;   in Loop: Header=BB4_33 Depth=1
	global_load_b64 v[16:17], v5, s[10:11]
	s_add_co_i32 s15, s14, -8
.LBB4_61:                               ;   in Loop: Header=BB4_33 Depth=1
	s_delay_alu instid0(SALU_CYCLE_1)
	s_cmp_gt_u32 s15, 7
	s_cbranch_scc1 .LBB4_66
; %bb.62:                               ;   in Loop: Header=BB4_33 Depth=1
	v_mov_b64_e32 v[18:19], 0
	s_cmp_eq_u32 s15, 0
	s_cbranch_scc1 .LBB4_65
; %bb.63:                               ;   in Loop: Header=BB4_33 Depth=1
	s_wait_xcnt 0x0
	s_mov_b64 s[10:11], 0
	s_mov_b64 s[12:13], 0
.LBB4_64:                               ;   Parent Loop BB4_33 Depth=1
                                        ; =>  This Inner Loop Header: Depth=2
	s_wait_xcnt 0x0
	s_add_nc_u64 s[16:17], s[0:1], s[12:13]
	s_add_nc_u64 s[12:13], s[12:13], 1
	global_load_u8 v1, v5, s[16:17]
	s_cmp_lg_u32 s15, s12
	s_wait_loadcnt 0x0
	v_and_b32_e32 v4, 0xffff, v1
	s_delay_alu instid0(VALU_DEP_1) | instskip(SKIP_1) | instid1(VALU_DEP_1)
	v_lshlrev_b64_e32 v[20:21], s10, v[4:5]
	s_add_nc_u64 s[10:11], s[10:11], 8
	v_or_b32_e32 v18, v20, v18
	s_delay_alu instid0(VALU_DEP_2)
	v_or_b32_e32 v19, v21, v19
	s_cbranch_scc1 .LBB4_64
.LBB4_65:                               ;   in Loop: Header=BB4_33 Depth=1
	s_wait_xcnt 0x0
	s_mov_b64 s[10:11], s[0:1]
	s_mov_b32 s14, 0
	s_cbranch_execz .LBB4_67
	s_branch .LBB4_68
.LBB4_66:                               ;   in Loop: Header=BB4_33 Depth=1
	s_wait_xcnt 0x0
	s_add_nc_u64 s[10:11], s[0:1], 8
	s_mov_b32 s14, 0
.LBB4_67:                               ;   in Loop: Header=BB4_33 Depth=1
	global_load_b64 v[18:19], v5, s[0:1]
	s_add_co_i32 s14, s15, -8
.LBB4_68:                               ;   in Loop: Header=BB4_33 Depth=1
	s_delay_alu instid0(SALU_CYCLE_1)
	s_cmp_gt_u32 s14, 7
	s_cbranch_scc1 .LBB4_73
; %bb.69:                               ;   in Loop: Header=BB4_33 Depth=1
	v_mov_b64_e32 v[20:21], 0
	s_cmp_eq_u32 s14, 0
	s_cbranch_scc1 .LBB4_72
; %bb.70:                               ;   in Loop: Header=BB4_33 Depth=1
	s_wait_xcnt 0x0
	s_mov_b64 s[0:1], 0
	s_mov_b64 s[12:13], 0
.LBB4_71:                               ;   Parent Loop BB4_33 Depth=1
                                        ; =>  This Inner Loop Header: Depth=2
	s_wait_xcnt 0x0
	s_add_nc_u64 s[16:17], s[10:11], s[12:13]
	s_add_nc_u64 s[12:13], s[12:13], 1
	global_load_u8 v1, v5, s[16:17]
	s_cmp_lg_u32 s14, s12
	s_wait_loadcnt 0x0
	v_and_b32_e32 v4, 0xffff, v1
	s_delay_alu instid0(VALU_DEP_1) | instskip(SKIP_1) | instid1(VALU_DEP_1)
	v_lshlrev_b64_e32 v[22:23], s0, v[4:5]
	s_add_nc_u64 s[0:1], s[0:1], 8
	v_or_b32_e32 v20, v22, v20
	s_delay_alu instid0(VALU_DEP_2)
	v_or_b32_e32 v21, v23, v21
	s_cbranch_scc1 .LBB4_71
.LBB4_72:                               ;   in Loop: Header=BB4_33 Depth=1
	s_wait_xcnt 0x0
	s_mov_b64 s[0:1], s[10:11]
	s_mov_b32 s15, 0
	s_cbranch_execz .LBB4_74
	s_branch .LBB4_75
.LBB4_73:                               ;   in Loop: Header=BB4_33 Depth=1
	s_wait_xcnt 0x0
	s_add_nc_u64 s[0:1], s[10:11], 8
                                        ; implicit-def: $vgpr20_vgpr21
	s_mov_b32 s15, 0
.LBB4_74:                               ;   in Loop: Header=BB4_33 Depth=1
	global_load_b64 v[20:21], v5, s[10:11]
	s_add_co_i32 s15, s14, -8
.LBB4_75:                               ;   in Loop: Header=BB4_33 Depth=1
	s_delay_alu instid0(SALU_CYCLE_1)
	s_cmp_gt_u32 s15, 7
	s_cbranch_scc1 .LBB4_80
; %bb.76:                               ;   in Loop: Header=BB4_33 Depth=1
	v_mov_b64_e32 v[22:23], 0
	s_cmp_eq_u32 s15, 0
	s_cbranch_scc1 .LBB4_79
; %bb.77:                               ;   in Loop: Header=BB4_33 Depth=1
	s_wait_xcnt 0x0
	s_mov_b64 s[10:11], 0
	s_mov_b64 s[12:13], s[0:1]
.LBB4_78:                               ;   Parent Loop BB4_33 Depth=1
                                        ; =>  This Inner Loop Header: Depth=2
	global_load_u8 v1, v5, s[12:13]
	s_add_co_i32 s15, s15, -1
	s_wait_xcnt 0x0
	s_add_nc_u64 s[12:13], s[12:13], 1
	s_cmp_lg_u32 s15, 0
	s_wait_loadcnt 0x0
	v_and_b32_e32 v4, 0xffff, v1
	s_delay_alu instid0(VALU_DEP_1) | instskip(SKIP_1) | instid1(VALU_DEP_1)
	v_lshlrev_b64_e32 v[24:25], s10, v[4:5]
	s_add_nc_u64 s[10:11], s[10:11], 8
	v_or_b32_e32 v22, v24, v22
	s_delay_alu instid0(VALU_DEP_2)
	v_or_b32_e32 v23, v25, v23
	s_cbranch_scc1 .LBB4_78
.LBB4_79:                               ;   in Loop: Header=BB4_33 Depth=1
	s_wait_xcnt 0x0
	s_cbranch_execz .LBB4_81
	s_branch .LBB4_82
.LBB4_80:                               ;   in Loop: Header=BB4_33 Depth=1
	s_wait_xcnt 0x0
.LBB4_81:                               ;   in Loop: Header=BB4_33 Depth=1
	global_load_b64 v[22:23], v5, s[0:1]
.LBB4_82:                               ;   in Loop: Header=BB4_33 Depth=1
	s_wait_xcnt 0x0
	v_readfirstlane_b32 s0, v32
	v_mov_b64_e32 v[28:29], 0
	s_delay_alu instid0(VALU_DEP_2)
	v_cmp_eq_u32_e64 s0, s0, v32
	s_and_saveexec_b32 s1, s0
	s_cbranch_execz .LBB4_88
; %bb.83:                               ;   in Loop: Header=BB4_33 Depth=1
	global_load_b64 v[26:27], v5, s[2:3] offset:24 scope:SCOPE_SYS
	s_wait_loadcnt 0x0
	global_inv scope:SCOPE_SYS
	s_clause 0x1
	global_load_b64 v[24:25], v5, s[2:3] offset:40
	global_load_b64 v[28:29], v5, s[2:3]
	s_mov_b32 s10, exec_lo
	s_wait_loadcnt 0x1
	v_and_b32_e32 v24, v24, v26
	v_and_b32_e32 v25, v25, v27
	s_delay_alu instid0(VALU_DEP_1) | instskip(SKIP_1) | instid1(VALU_DEP_1)
	v_mul_u64_e32 v[24:25], 24, v[24:25]
	s_wait_loadcnt 0x0
	v_add_nc_u64_e32 v[24:25], v[28:29], v[24:25]
	global_load_b64 v[24:25], v[24:25], off scope:SCOPE_SYS
	s_wait_xcnt 0x0
	s_wait_loadcnt 0x0
	global_atomic_cmpswap_b64 v[28:29], v5, v[24:27], s[2:3] offset:24 th:TH_ATOMIC_RETURN scope:SCOPE_SYS
	s_wait_loadcnt 0x0
	global_inv scope:SCOPE_SYS
	s_wait_xcnt 0x0
	v_cmpx_ne_u64_e64 v[28:29], v[26:27]
	s_cbranch_execz .LBB4_87
; %bb.84:                               ;   in Loop: Header=BB4_33 Depth=1
	s_mov_b32 s11, 0
.LBB4_85:                               ;   Parent Loop BB4_33 Depth=1
                                        ; =>  This Inner Loop Header: Depth=2
	s_sleep 1
	s_clause 0x1
	global_load_b64 v[24:25], v5, s[2:3] offset:40
	global_load_b64 v[30:31], v5, s[2:3]
	v_mov_b64_e32 v[26:27], v[28:29]
	s_wait_loadcnt 0x1
	s_delay_alu instid0(VALU_DEP_1) | instskip(SKIP_1) | instid1(VALU_DEP_1)
	v_and_b32_e32 v1, v24, v26
	s_wait_loadcnt 0x0
	v_mad_nc_u64_u32 v[28:29], v1, 24, v[30:31]
	s_delay_alu instid0(VALU_DEP_3) | instskip(NEXT) | instid1(VALU_DEP_1)
	v_and_b32_e32 v1, v25, v27
	v_mad_u32 v29, v1, 24, v29
	global_load_b64 v[24:25], v[28:29], off scope:SCOPE_SYS
	s_wait_xcnt 0x0
	s_wait_loadcnt 0x0
	global_atomic_cmpswap_b64 v[28:29], v5, v[24:27], s[2:3] offset:24 th:TH_ATOMIC_RETURN scope:SCOPE_SYS
	s_wait_loadcnt 0x0
	global_inv scope:SCOPE_SYS
	v_cmp_eq_u64_e32 vcc_lo, v[28:29], v[26:27]
	s_or_b32 s11, vcc_lo, s11
	s_wait_xcnt 0x0
	s_and_not1_b32 exec_lo, exec_lo, s11
	s_cbranch_execnz .LBB4_85
; %bb.86:                               ;   in Loop: Header=BB4_33 Depth=1
	s_or_b32 exec_lo, exec_lo, s11
.LBB4_87:                               ;   in Loop: Header=BB4_33 Depth=1
	s_delay_alu instid0(SALU_CYCLE_1)
	s_or_b32 exec_lo, exec_lo, s10
.LBB4_88:                               ;   in Loop: Header=BB4_33 Depth=1
	s_delay_alu instid0(SALU_CYCLE_1)
	s_or_b32 exec_lo, exec_lo, s1
	s_clause 0x1
	global_load_b64 v[30:31], v5, s[2:3] offset:40
	global_load_b128 v[24:27], v5, s[2:3]
	v_readfirstlane_b32 s10, v28
	v_readfirstlane_b32 s11, v29
	s_mov_b32 s1, exec_lo
	s_wait_loadcnt 0x1
	v_and_b32_e32 v30, s10, v30
	v_and_b32_e32 v31, s11, v31
	s_delay_alu instid0(VALU_DEP_1) | instskip(SKIP_1) | instid1(VALU_DEP_1)
	v_mul_u64_e32 v[28:29], 24, v[30:31]
	s_wait_loadcnt 0x0
	v_add_nc_u64_e32 v[28:29], v[24:25], v[28:29]
	s_wait_xcnt 0x0
	s_and_saveexec_b32 s12, s0
	s_cbranch_execz .LBB4_90
; %bb.89:                               ;   in Loop: Header=BB4_33 Depth=1
	v_mov_b32_e32 v4, s1
	global_store_b128 v[28:29], v[4:7], off offset:8
.LBB4_90:                               ;   in Loop: Header=BB4_33 Depth=1
	s_wait_xcnt 0x0
	s_or_b32 exec_lo, exec_lo, s12
	v_cmp_gt_u64_e64 s1, s[6:7], 56
	v_lshlrev_b64_e32 v[30:31], 12, v[30:31]
	v_and_b32_e32 v1, 0xffffff1f, v8
	s_and_b32 s1, s1, exec_lo
	s_delay_alu instid0(VALU_DEP_2) | instskip(SKIP_4) | instid1(VALU_DEP_2)
	v_add_nc_u64_e32 v[26:27], v[26:27], v[30:31]
	s_cselect_b32 s1, 0, 2
	s_lshl_b32 s12, s8, 2
	v_or_b32_e32 v1, s1, v1
	s_add_co_i32 s1, s12, 28
	v_readfirstlane_b32 s12, v26
	s_delay_alu instid0(VALU_DEP_3) | instskip(NEXT) | instid1(VALU_DEP_3)
	v_readfirstlane_b32 s13, v27
	v_and_or_b32 v8, 0x1e0, s1, v1
	s_clause 0x3
	global_store_b128 v0, v[8:11], s[12:13]
	global_store_b128 v0, v[12:15], s[12:13] offset:16
	global_store_b128 v0, v[16:19], s[12:13] offset:32
	;; [unrolled: 1-line block ×3, first 2 shown]
	s_wait_xcnt 0x0
	s_and_saveexec_b32 s1, s0
	s_cbranch_execz .LBB4_98
; %bb.91:                               ;   in Loop: Header=BB4_33 Depth=1
	s_clause 0x1
	global_load_b64 v[16:17], v5, s[2:3] offset:32 scope:SCOPE_SYS
	global_load_b64 v[8:9], v5, s[2:3] offset:40
	s_mov_b32 s12, exec_lo
	v_dual_mov_b32 v14, s10 :: v_dual_mov_b32 v15, s11
	s_wait_loadcnt 0x0
	v_and_b32_e32 v9, s11, v9
	v_and_b32_e32 v8, s10, v8
	s_delay_alu instid0(VALU_DEP_1) | instskip(NEXT) | instid1(VALU_DEP_1)
	v_mul_u64_e32 v[8:9], 24, v[8:9]
	v_add_nc_u64_e32 v[12:13], v[24:25], v[8:9]
	global_store_b64 v[12:13], v[16:17], off
	global_wb scope:SCOPE_SYS
	s_wait_storecnt 0x0
	s_wait_xcnt 0x0
	global_atomic_cmpswap_b64 v[10:11], v5, v[14:17], s[2:3] offset:32 th:TH_ATOMIC_RETURN scope:SCOPE_SYS
	s_wait_loadcnt 0x0
	v_cmpx_ne_u64_e64 v[10:11], v[16:17]
	s_cbranch_execz .LBB4_94
; %bb.92:                               ;   in Loop: Header=BB4_33 Depth=1
	s_mov_b32 s13, 0
.LBB4_93:                               ;   Parent Loop BB4_33 Depth=1
                                        ; =>  This Inner Loop Header: Depth=2
	v_dual_mov_b32 v8, s10 :: v_dual_mov_b32 v9, s11
	s_sleep 1
	global_store_b64 v[12:13], v[10:11], off
	global_wb scope:SCOPE_SYS
	s_wait_storecnt 0x0
	s_wait_xcnt 0x0
	global_atomic_cmpswap_b64 v[8:9], v5, v[8:11], s[2:3] offset:32 th:TH_ATOMIC_RETURN scope:SCOPE_SYS
	s_wait_loadcnt 0x0
	v_cmp_eq_u64_e32 vcc_lo, v[8:9], v[10:11]
	v_mov_b64_e32 v[10:11], v[8:9]
	s_or_b32 s13, vcc_lo, s13
	s_delay_alu instid0(SALU_CYCLE_1)
	s_and_not1_b32 exec_lo, exec_lo, s13
	s_cbranch_execnz .LBB4_93
.LBB4_94:                               ;   in Loop: Header=BB4_33 Depth=1
	s_or_b32 exec_lo, exec_lo, s12
	global_load_b64 v[8:9], v5, s[2:3] offset:16
	s_mov_b32 s13, exec_lo
	s_mov_b32 s12, exec_lo
	v_mbcnt_lo_u32_b32 v1, s13, 0
	s_wait_xcnt 0x0
	s_delay_alu instid0(VALU_DEP_1)
	v_cmpx_eq_u32_e32 0, v1
	s_cbranch_execz .LBB4_96
; %bb.95:                               ;   in Loop: Header=BB4_33 Depth=1
	s_bcnt1_i32_b32 s13, s13
	s_delay_alu instid0(SALU_CYCLE_1)
	v_mov_b32_e32 v4, s13
	global_wb scope:SCOPE_SYS
	s_wait_loadcnt 0x0
	s_wait_storecnt 0x0
	global_atomic_add_u64 v[8:9], v[4:5], off offset:8 scope:SCOPE_SYS
.LBB4_96:                               ;   in Loop: Header=BB4_33 Depth=1
	s_wait_xcnt 0x0
	s_or_b32 exec_lo, exec_lo, s12
	s_wait_loadcnt 0x0
	global_load_b64 v[10:11], v[8:9], off offset:16
	s_wait_loadcnt 0x0
	v_cmp_eq_u64_e32 vcc_lo, 0, v[10:11]
	s_cbranch_vccnz .LBB4_98
; %bb.97:                               ;   in Loop: Header=BB4_33 Depth=1
	global_load_b32 v4, v[8:9], off offset:24
	s_wait_loadcnt 0x0
	v_readfirstlane_b32 s12, v4
	global_wb scope:SCOPE_SYS
	s_wait_storecnt 0x0
	s_wait_xcnt 0x0
	global_store_b64 v[10:11], v[4:5], off scope:SCOPE_SYS
	s_and_b32 m0, s12, 0xffffff
	s_sendmsg sendmsg(MSG_INTERRUPT)
.LBB4_98:                               ;   in Loop: Header=BB4_33 Depth=1
	s_wait_xcnt 0x0
	s_or_b32 exec_lo, exec_lo, s1
	v_mov_b32_e32 v1, v5
	s_delay_alu instid0(VALU_DEP_1)
	v_add_nc_u64_e32 v[8:9], v[26:27], v[0:1]
	s_branch .LBB4_102
.LBB4_99:                               ;   in Loop: Header=BB4_102 Depth=2
	s_wait_xcnt 0x0
	s_or_b32 exec_lo, exec_lo, s1
	s_delay_alu instid0(VALU_DEP_1)
	v_readfirstlane_b32 s1, v1
	s_cmp_eq_u32 s1, 0
	s_cbranch_scc1 .LBB4_101
; %bb.100:                              ;   in Loop: Header=BB4_102 Depth=2
	s_sleep 1
	s_cbranch_execnz .LBB4_102
	s_branch .LBB4_104
.LBB4_101:                              ;   in Loop: Header=BB4_33 Depth=1
	s_branch .LBB4_104
.LBB4_102:                              ;   Parent Loop BB4_33 Depth=1
                                        ; =>  This Inner Loop Header: Depth=2
	v_mov_b32_e32 v1, 1
	s_and_saveexec_b32 s1, s0
	s_cbranch_execz .LBB4_99
; %bb.103:                              ;   in Loop: Header=BB4_102 Depth=2
	global_load_b32 v1, v[28:29], off offset:20 scope:SCOPE_SYS
	s_wait_loadcnt 0x0
	global_inv scope:SCOPE_SYS
	v_and_b32_e32 v1, 1, v1
	s_branch .LBB4_99
.LBB4_104:                              ;   in Loop: Header=BB4_33 Depth=1
	global_load_b128 v[8:11], v[8:9], off
	s_wait_xcnt 0x0
	s_and_saveexec_b32 s12, s0
	s_cbranch_execz .LBB4_32
; %bb.105:                              ;   in Loop: Header=BB4_33 Depth=1
	s_wait_loadcnt 0x0
	s_clause 0x2
	global_load_b64 v[10:11], v5, s[2:3] offset:40
	global_load_b64 v[18:19], v5, s[2:3] offset:24 scope:SCOPE_SYS
	global_load_b64 v[12:13], v5, s[2:3]
	s_wait_loadcnt 0x2
	v_readfirstlane_b32 s14, v10
	v_readfirstlane_b32 s15, v11
	s_add_nc_u64 s[0:1], s[14:15], 1
	s_delay_alu instid0(SALU_CYCLE_1) | instskip(NEXT) | instid1(SALU_CYCLE_1)
	s_add_nc_u64 s[10:11], s[0:1], s[10:11]
	s_cmp_eq_u64 s[10:11], 0
	s_cselect_b32 s1, s1, s11
	s_cselect_b32 s0, s0, s10
	s_delay_alu instid0(SALU_CYCLE_1) | instskip(SKIP_1) | instid1(SALU_CYCLE_1)
	v_dual_mov_b32 v17, s1 :: v_dual_mov_b32 v16, s0
	s_and_b64 s[10:11], s[0:1], s[14:15]
	s_mul_u64 s[10:11], s[10:11], 24
	s_wait_loadcnt 0x0
	v_add_nc_u64_e32 v[14:15], s[10:11], v[12:13]
	global_store_b64 v[14:15], v[18:19], off
	global_wb scope:SCOPE_SYS
	s_wait_storecnt 0x0
	s_wait_xcnt 0x0
	global_atomic_cmpswap_b64 v[12:13], v5, v[16:19], s[2:3] offset:24 th:TH_ATOMIC_RETURN scope:SCOPE_SYS
	s_wait_loadcnt 0x0
	v_cmp_ne_u64_e32 vcc_lo, v[12:13], v[18:19]
	s_and_b32 exec_lo, exec_lo, vcc_lo
	s_cbranch_execz .LBB4_32
; %bb.106:                              ;   in Loop: Header=BB4_33 Depth=1
	s_mov_b32 s10, 0
.LBB4_107:                              ;   Parent Loop BB4_33 Depth=1
                                        ; =>  This Inner Loop Header: Depth=2
	v_dual_mov_b32 v10, s0 :: v_dual_mov_b32 v11, s1
	s_sleep 1
	global_store_b64 v[14:15], v[12:13], off
	global_wb scope:SCOPE_SYS
	s_wait_storecnt 0x0
	s_wait_xcnt 0x0
	global_atomic_cmpswap_b64 v[10:11], v5, v[10:13], s[2:3] offset:24 th:TH_ATOMIC_RETURN scope:SCOPE_SYS
	s_wait_loadcnt 0x0
	v_cmp_eq_u64_e32 vcc_lo, v[10:11], v[12:13]
	v_mov_b64_e32 v[12:13], v[10:11]
	s_or_b32 s10, vcc_lo, s10
	s_delay_alu instid0(SALU_CYCLE_1)
	s_and_not1_b32 exec_lo, exec_lo, s10
	s_cbranch_execnz .LBB4_107
	s_branch .LBB4_32
.LBB4_108:
	s_branch .LBB4_136
.LBB4_109:
	s_cbranch_execz .LBB4_136
; %bb.110:
	v_readfirstlane_b32 s0, v32
	s_wait_loadcnt 0x0
	v_mov_b64_e32 v[10:11], 0
	s_delay_alu instid0(VALU_DEP_2)
	v_cmp_eq_u32_e64 s0, s0, v32
	s_and_saveexec_b32 s1, s0
	s_cbranch_execz .LBB4_116
; %bb.111:
	v_mov_b32_e32 v1, 0
	s_mov_b32 s4, exec_lo
	global_load_b64 v[6:7], v1, s[2:3] offset:24 scope:SCOPE_SYS
	s_wait_loadcnt 0x0
	global_inv scope:SCOPE_SYS
	s_clause 0x1
	global_load_b64 v[4:5], v1, s[2:3] offset:40
	global_load_b64 v[8:9], v1, s[2:3]
	s_wait_loadcnt 0x1
	v_and_b32_e32 v4, v4, v6
	v_and_b32_e32 v5, v5, v7
	s_delay_alu instid0(VALU_DEP_1) | instskip(SKIP_1) | instid1(VALU_DEP_1)
	v_mul_u64_e32 v[4:5], 24, v[4:5]
	s_wait_loadcnt 0x0
	v_add_nc_u64_e32 v[4:5], v[8:9], v[4:5]
	global_load_b64 v[4:5], v[4:5], off scope:SCOPE_SYS
	s_wait_xcnt 0x0
	s_wait_loadcnt 0x0
	global_atomic_cmpswap_b64 v[10:11], v1, v[4:7], s[2:3] offset:24 th:TH_ATOMIC_RETURN scope:SCOPE_SYS
	s_wait_loadcnt 0x0
	global_inv scope:SCOPE_SYS
	s_wait_xcnt 0x0
	v_cmpx_ne_u64_e64 v[10:11], v[6:7]
	s_cbranch_execz .LBB4_115
; %bb.112:
	s_mov_b32 s5, 0
.LBB4_113:                              ; =>This Inner Loop Header: Depth=1
	s_sleep 1
	s_clause 0x1
	global_load_b64 v[4:5], v1, s[2:3] offset:40
	global_load_b64 v[8:9], v1, s[2:3]
	v_mov_b64_e32 v[6:7], v[10:11]
	s_wait_loadcnt 0x1
	s_delay_alu instid0(VALU_DEP_1) | instskip(SKIP_1) | instid1(VALU_DEP_1)
	v_and_b32_e32 v4, v4, v6
	s_wait_loadcnt 0x0
	v_mad_nc_u64_u32 v[8:9], v4, 24, v[8:9]
	s_delay_alu instid0(VALU_DEP_3) | instskip(NEXT) | instid1(VALU_DEP_1)
	v_and_b32_e32 v4, v5, v7
	v_mad_u32 v9, v4, 24, v9
	global_load_b64 v[4:5], v[8:9], off scope:SCOPE_SYS
	s_wait_xcnt 0x0
	s_wait_loadcnt 0x0
	global_atomic_cmpswap_b64 v[10:11], v1, v[4:7], s[2:3] offset:24 th:TH_ATOMIC_RETURN scope:SCOPE_SYS
	s_wait_loadcnt 0x0
	global_inv scope:SCOPE_SYS
	v_cmp_eq_u64_e32 vcc_lo, v[10:11], v[6:7]
	s_or_b32 s5, vcc_lo, s5
	s_wait_xcnt 0x0
	s_and_not1_b32 exec_lo, exec_lo, s5
	s_cbranch_execnz .LBB4_113
; %bb.114:
	s_or_b32 exec_lo, exec_lo, s5
.LBB4_115:
	s_delay_alu instid0(SALU_CYCLE_1)
	s_or_b32 exec_lo, exec_lo, s4
.LBB4_116:
	s_delay_alu instid0(SALU_CYCLE_1)
	s_or_b32 exec_lo, exec_lo, s1
	v_readfirstlane_b32 s4, v10
	v_mov_b32_e32 v4, 0
	v_readfirstlane_b32 s5, v11
	s_mov_b32 s1, exec_lo
	s_clause 0x1
	global_load_b64 v[12:13], v4, s[2:3] offset:40
	global_load_b128 v[6:9], v4, s[2:3]
	s_wait_loadcnt 0x1
	v_and_b32_e32 v12, s4, v12
	v_and_b32_e32 v13, s5, v13
	s_delay_alu instid0(VALU_DEP_1) | instskip(SKIP_1) | instid1(VALU_DEP_1)
	v_mul_u64_e32 v[10:11], 24, v[12:13]
	s_wait_loadcnt 0x0
	v_add_nc_u64_e32 v[10:11], v[6:7], v[10:11]
	s_wait_xcnt 0x0
	s_and_saveexec_b32 s6, s0
	s_cbranch_execz .LBB4_118
; %bb.117:
	v_mov_b64_e32 v[16:17], 0x100000002
	v_dual_mov_b32 v14, s1 :: v_dual_mov_b32 v15, v4
	global_store_b128 v[10:11], v[14:17], off offset:8
.LBB4_118:
	s_wait_xcnt 0x0
	s_or_b32 exec_lo, exec_lo, s6
	v_lshlrev_b64_e32 v[12:13], 12, v[12:13]
	s_mov_b32 s8, 0
	v_and_or_b32 v2, 0xffffff1d, v2, 34
	s_mov_b32 s10, s8
	s_mov_b32 s11, s8
	;; [unrolled: 1-line block ×3, first 2 shown]
	v_mov_b32_e32 v5, v4
	v_add_nc_u64_e32 v[8:9], v[8:9], v[12:13]
	v_mov_b64_e32 v[14:15], s[10:11]
	v_mov_b64_e32 v[12:13], s[8:9]
	s_delay_alu instid0(VALU_DEP_3) | instskip(NEXT) | instid1(VALU_DEP_4)
	v_readfirstlane_b32 s6, v8
	v_readfirstlane_b32 s7, v9
	s_clause 0x3
	global_store_b128 v0, v[2:5], s[6:7]
	global_store_b128 v0, v[12:15], s[6:7] offset:16
	global_store_b128 v0, v[12:15], s[6:7] offset:32
	;; [unrolled: 1-line block ×3, first 2 shown]
	s_wait_xcnt 0x0
	s_and_saveexec_b32 s1, s0
	s_cbranch_execz .LBB4_126
; %bb.119:
	v_dual_mov_b32 v8, 0 :: v_dual_mov_b32 v13, s5
	s_mov_b32 s6, exec_lo
	s_clause 0x1
	global_load_b64 v[14:15], v8, s[2:3] offset:32 scope:SCOPE_SYS
	global_load_b64 v[0:1], v8, s[2:3] offset:40
	s_wait_loadcnt 0x0
	v_dual_mov_b32 v12, s4 :: v_dual_bitop2_b32 v1, s5, v1 bitop3:0x40
	v_and_b32_e32 v0, s4, v0
	s_delay_alu instid0(VALU_DEP_1) | instskip(NEXT) | instid1(VALU_DEP_1)
	v_mul_u64_e32 v[0:1], 24, v[0:1]
	v_add_nc_u64_e32 v[4:5], v[6:7], v[0:1]
	global_store_b64 v[4:5], v[14:15], off
	global_wb scope:SCOPE_SYS
	s_wait_storecnt 0x0
	s_wait_xcnt 0x0
	global_atomic_cmpswap_b64 v[2:3], v8, v[12:15], s[2:3] offset:32 th:TH_ATOMIC_RETURN scope:SCOPE_SYS
	s_wait_loadcnt 0x0
	v_cmpx_ne_u64_e64 v[2:3], v[14:15]
	s_cbranch_execz .LBB4_122
; %bb.120:
	s_mov_b32 s7, 0
.LBB4_121:                              ; =>This Inner Loop Header: Depth=1
	v_dual_mov_b32 v0, s4 :: v_dual_mov_b32 v1, s5
	s_sleep 1
	global_store_b64 v[4:5], v[2:3], off
	global_wb scope:SCOPE_SYS
	s_wait_storecnt 0x0
	s_wait_xcnt 0x0
	global_atomic_cmpswap_b64 v[0:1], v8, v[0:3], s[2:3] offset:32 th:TH_ATOMIC_RETURN scope:SCOPE_SYS
	s_wait_loadcnt 0x0
	v_cmp_eq_u64_e32 vcc_lo, v[0:1], v[2:3]
	v_mov_b64_e32 v[2:3], v[0:1]
	s_or_b32 s7, vcc_lo, s7
	s_delay_alu instid0(SALU_CYCLE_1)
	s_and_not1_b32 exec_lo, exec_lo, s7
	s_cbranch_execnz .LBB4_121
.LBB4_122:
	s_or_b32 exec_lo, exec_lo, s6
	v_mov_b32_e32 v3, 0
	s_mov_b32 s7, exec_lo
	s_mov_b32 s6, exec_lo
	v_mbcnt_lo_u32_b32 v2, s7, 0
	global_load_b64 v[0:1], v3, s[2:3] offset:16
	s_wait_xcnt 0x0
	v_cmpx_eq_u32_e32 0, v2
	s_cbranch_execz .LBB4_124
; %bb.123:
	s_bcnt1_i32_b32 s7, s7
	s_delay_alu instid0(SALU_CYCLE_1)
	v_mov_b32_e32 v2, s7
	global_wb scope:SCOPE_SYS
	s_wait_loadcnt 0x0
	s_wait_storecnt 0x0
	global_atomic_add_u64 v[0:1], v[2:3], off offset:8 scope:SCOPE_SYS
.LBB4_124:
	s_wait_xcnt 0x0
	s_or_b32 exec_lo, exec_lo, s6
	s_wait_loadcnt 0x0
	global_load_b64 v[2:3], v[0:1], off offset:16
	s_wait_loadcnt 0x0
	v_cmp_eq_u64_e32 vcc_lo, 0, v[2:3]
	s_cbranch_vccnz .LBB4_126
; %bb.125:
	global_load_b32 v0, v[0:1], off offset:24
	s_wait_xcnt 0x0
	v_mov_b32_e32 v1, 0
	s_wait_loadcnt 0x0
	v_readfirstlane_b32 s6, v0
	global_wb scope:SCOPE_SYS
	s_wait_storecnt 0x0
	global_store_b64 v[2:3], v[0:1], off scope:SCOPE_SYS
	s_and_b32 m0, s6, 0xffffff
	s_sendmsg sendmsg(MSG_INTERRUPT)
.LBB4_126:
	s_wait_xcnt 0x0
	s_or_b32 exec_lo, exec_lo, s1
	s_branch .LBB4_130
.LBB4_127:                              ;   in Loop: Header=BB4_130 Depth=1
	s_wait_xcnt 0x0
	s_or_b32 exec_lo, exec_lo, s1
	s_delay_alu instid0(VALU_DEP_1)
	v_readfirstlane_b32 s1, v0
	s_cmp_eq_u32 s1, 0
	s_cbranch_scc1 .LBB4_129
; %bb.128:                              ;   in Loop: Header=BB4_130 Depth=1
	s_sleep 1
	s_cbranch_execnz .LBB4_130
	s_branch .LBB4_132
.LBB4_129:
	s_branch .LBB4_132
.LBB4_130:                              ; =>This Inner Loop Header: Depth=1
	v_mov_b32_e32 v0, 1
	s_and_saveexec_b32 s1, s0
	s_cbranch_execz .LBB4_127
; %bb.131:                              ;   in Loop: Header=BB4_130 Depth=1
	global_load_b32 v0, v[10:11], off offset:20 scope:SCOPE_SYS
	s_wait_loadcnt 0x0
	global_inv scope:SCOPE_SYS
	v_and_b32_e32 v0, 1, v0
	s_branch .LBB4_127
.LBB4_132:
	s_and_saveexec_b32 s1, s0
	s_cbranch_execz .LBB4_136
; %bb.133:
	v_mov_b32_e32 v6, 0
	s_clause 0x2
	global_load_b64 v[0:1], v6, s[2:3] offset:40
	global_load_b64 v[10:11], v6, s[2:3] offset:24 scope:SCOPE_SYS
	global_load_b64 v[2:3], v6, s[2:3]
	s_wait_loadcnt 0x2
	v_readfirstlane_b32 s6, v0
	v_readfirstlane_b32 s7, v1
	s_add_nc_u64 s[0:1], s[6:7], 1
	s_delay_alu instid0(SALU_CYCLE_1) | instskip(NEXT) | instid1(SALU_CYCLE_1)
	s_add_nc_u64 s[4:5], s[0:1], s[4:5]
	s_cmp_eq_u64 s[4:5], 0
	s_cselect_b32 s1, s1, s5
	s_cselect_b32 s0, s0, s4
	v_mov_b32_e32 v9, s1
	s_and_b64 s[4:5], s[0:1], s[6:7]
	v_mov_b32_e32 v8, s0
	s_mul_u64 s[4:5], s[4:5], 24
	s_wait_loadcnt 0x0
	v_add_nc_u64_e32 v[4:5], s[4:5], v[2:3]
	global_store_b64 v[4:5], v[10:11], off
	global_wb scope:SCOPE_SYS
	s_wait_storecnt 0x0
	s_wait_xcnt 0x0
	global_atomic_cmpswap_b64 v[2:3], v6, v[8:11], s[2:3] offset:24 th:TH_ATOMIC_RETURN scope:SCOPE_SYS
	s_wait_loadcnt 0x0
	v_cmp_ne_u64_e32 vcc_lo, v[2:3], v[10:11]
	s_and_b32 exec_lo, exec_lo, vcc_lo
	s_cbranch_execz .LBB4_136
; %bb.134:
	s_mov_b32 s4, 0
.LBB4_135:                              ; =>This Inner Loop Header: Depth=1
	v_dual_mov_b32 v0, s0 :: v_dual_mov_b32 v1, s1
	s_sleep 1
	global_store_b64 v[4:5], v[2:3], off
	global_wb scope:SCOPE_SYS
	s_wait_storecnt 0x0
	s_wait_xcnt 0x0
	global_atomic_cmpswap_b64 v[0:1], v6, v[0:3], s[2:3] offset:24 th:TH_ATOMIC_RETURN scope:SCOPE_SYS
	s_wait_loadcnt 0x0
	v_cmp_eq_u64_e32 vcc_lo, v[0:1], v[2:3]
	v_mov_b64_e32 v[2:3], v[0:1]
	s_or_b32 s4, vcc_lo, s4
	s_delay_alu instid0(SALU_CYCLE_1)
	s_and_not1_b32 exec_lo, exec_lo, s4
	s_cbranch_execnz .LBB4_135
.LBB4_136:
	s_endpgm
	.section	.rodata,"a",@progbits
	.p2align	6, 0x0
	.amdhsa_kernel _ZN2at6native30tinygemm_m16n8k16_chunk_kernelINS0_10ALayout_RMILNS0_14KReductionTypeE0EEENS0_15BLayout_TC_int4ILi4ELi64EEES4_Li8ELi8EEEvPKvS8_S8_Pviiiiii
		.amdhsa_group_segment_fixed_size 0
		.amdhsa_private_segment_fixed_size 0
		.amdhsa_kernarg_size 312
		.amdhsa_user_sgpr_count 2
		.amdhsa_user_sgpr_dispatch_ptr 0
		.amdhsa_user_sgpr_queue_ptr 0
		.amdhsa_user_sgpr_kernarg_segment_ptr 1
		.amdhsa_user_sgpr_dispatch_id 0
		.amdhsa_user_sgpr_kernarg_preload_length 0
		.amdhsa_user_sgpr_kernarg_preload_offset 0
		.amdhsa_user_sgpr_private_segment_size 0
		.amdhsa_wavefront_size32 1
		.amdhsa_uses_dynamic_stack 0
		.amdhsa_enable_private_segment 0
		.amdhsa_system_sgpr_workgroup_id_x 1
		.amdhsa_system_sgpr_workgroup_id_y 0
		.amdhsa_system_sgpr_workgroup_id_z 0
		.amdhsa_system_sgpr_workgroup_info 0
		.amdhsa_system_vgpr_workitem_id 0
		.amdhsa_next_free_vgpr 33
		.amdhsa_next_free_sgpr 18
		.amdhsa_named_barrier_count 0
		.amdhsa_reserve_vcc 1
		.amdhsa_float_round_mode_32 0
		.amdhsa_float_round_mode_16_64 0
		.amdhsa_float_denorm_mode_32 3
		.amdhsa_float_denorm_mode_16_64 3
		.amdhsa_fp16_overflow 0
		.amdhsa_memory_ordered 1
		.amdhsa_forward_progress 1
		.amdhsa_inst_pref_size 43
		.amdhsa_round_robin_scheduling 0
		.amdhsa_exception_fp_ieee_invalid_op 0
		.amdhsa_exception_fp_denorm_src 0
		.amdhsa_exception_fp_ieee_div_zero 0
		.amdhsa_exception_fp_ieee_overflow 0
		.amdhsa_exception_fp_ieee_underflow 0
		.amdhsa_exception_fp_ieee_inexact 0
		.amdhsa_exception_int_div_zero 0
	.end_amdhsa_kernel
	.section	.text._ZN2at6native30tinygemm_m16n8k16_chunk_kernelINS0_10ALayout_RMILNS0_14KReductionTypeE0EEENS0_15BLayout_TC_int4ILi4ELi64EEES4_Li8ELi8EEEvPKvS8_S8_Pviiiiii,"axG",@progbits,_ZN2at6native30tinygemm_m16n8k16_chunk_kernelINS0_10ALayout_RMILNS0_14KReductionTypeE0EEENS0_15BLayout_TC_int4ILi4ELi64EEES4_Li8ELi8EEEvPKvS8_S8_Pviiiiii,comdat
.Lfunc_end4:
	.size	_ZN2at6native30tinygemm_m16n8k16_chunk_kernelINS0_10ALayout_RMILNS0_14KReductionTypeE0EEENS0_15BLayout_TC_int4ILi4ELi64EEES4_Li8ELi8EEEvPKvS8_S8_Pviiiiii, .Lfunc_end4-_ZN2at6native30tinygemm_m16n8k16_chunk_kernelINS0_10ALayout_RMILNS0_14KReductionTypeE0EEENS0_15BLayout_TC_int4ILi4ELi64EEES4_Li8ELi8EEEvPKvS8_S8_Pviiiiii
                                        ; -- End function
	.set _ZN2at6native30tinygemm_m16n8k16_chunk_kernelINS0_10ALayout_RMILNS0_14KReductionTypeE0EEENS0_15BLayout_TC_int4ILi4ELi64EEES4_Li8ELi8EEEvPKvS8_S8_Pviiiiii.num_vgpr, 33
	.set _ZN2at6native30tinygemm_m16n8k16_chunk_kernelINS0_10ALayout_RMILNS0_14KReductionTypeE0EEENS0_15BLayout_TC_int4ILi4ELi64EEES4_Li8ELi8EEEvPKvS8_S8_Pviiiiii.num_agpr, 0
	.set _ZN2at6native30tinygemm_m16n8k16_chunk_kernelINS0_10ALayout_RMILNS0_14KReductionTypeE0EEENS0_15BLayout_TC_int4ILi4ELi64EEES4_Li8ELi8EEEvPKvS8_S8_Pviiiiii.numbered_sgpr, 18
	.set _ZN2at6native30tinygemm_m16n8k16_chunk_kernelINS0_10ALayout_RMILNS0_14KReductionTypeE0EEENS0_15BLayout_TC_int4ILi4ELi64EEES4_Li8ELi8EEEvPKvS8_S8_Pviiiiii.num_named_barrier, 0
	.set _ZN2at6native30tinygemm_m16n8k16_chunk_kernelINS0_10ALayout_RMILNS0_14KReductionTypeE0EEENS0_15BLayout_TC_int4ILi4ELi64EEES4_Li8ELi8EEEvPKvS8_S8_Pviiiiii.private_seg_size, 0
	.set _ZN2at6native30tinygemm_m16n8k16_chunk_kernelINS0_10ALayout_RMILNS0_14KReductionTypeE0EEENS0_15BLayout_TC_int4ILi4ELi64EEES4_Li8ELi8EEEvPKvS8_S8_Pviiiiii.uses_vcc, 1
	.set _ZN2at6native30tinygemm_m16n8k16_chunk_kernelINS0_10ALayout_RMILNS0_14KReductionTypeE0EEENS0_15BLayout_TC_int4ILi4ELi64EEES4_Li8ELi8EEEvPKvS8_S8_Pviiiiii.uses_flat_scratch, 0
	.set _ZN2at6native30tinygemm_m16n8k16_chunk_kernelINS0_10ALayout_RMILNS0_14KReductionTypeE0EEENS0_15BLayout_TC_int4ILi4ELi64EEES4_Li8ELi8EEEvPKvS8_S8_Pviiiiii.has_dyn_sized_stack, 0
	.set _ZN2at6native30tinygemm_m16n8k16_chunk_kernelINS0_10ALayout_RMILNS0_14KReductionTypeE0EEENS0_15BLayout_TC_int4ILi4ELi64EEES4_Li8ELi8EEEvPKvS8_S8_Pviiiiii.has_recursion, 0
	.set _ZN2at6native30tinygemm_m16n8k16_chunk_kernelINS0_10ALayout_RMILNS0_14KReductionTypeE0EEENS0_15BLayout_TC_int4ILi4ELi64EEES4_Li8ELi8EEEvPKvS8_S8_Pviiiiii.has_indirect_call, 0
	.section	.AMDGPU.csdata,"",@progbits
; Kernel info:
; codeLenInByte = 5440
; TotalNumSgprs: 20
; NumVgprs: 33
; ScratchSize: 0
; MemoryBound: 0
; FloatMode: 240
; IeeeMode: 1
; LDSByteSize: 0 bytes/workgroup (compile time only)
; SGPRBlocks: 0
; VGPRBlocks: 2
; NumSGPRsForWavesPerEU: 20
; NumVGPRsForWavesPerEU: 33
; NamedBarCnt: 0
; Occupancy: 16
; WaveLimiterHint : 1
; COMPUTE_PGM_RSRC2:SCRATCH_EN: 0
; COMPUTE_PGM_RSRC2:USER_SGPR: 2
; COMPUTE_PGM_RSRC2:TRAP_HANDLER: 0
; COMPUTE_PGM_RSRC2:TGID_X_EN: 1
; COMPUTE_PGM_RSRC2:TGID_Y_EN: 0
; COMPUTE_PGM_RSRC2:TGID_Z_EN: 0
; COMPUTE_PGM_RSRC2:TIDIG_COMP_CNT: 0
	.section	.text._ZN2at6native30tinygemm_m16n8k16_chunk_kernelINS0_10ALayout_RMILNS0_14KReductionTypeE0EEENS0_15BLayout_TC_int4ILi8ELi64EEES4_Li8ELi8EEEvPKvS8_S8_Pviiiiii,"axG",@progbits,_ZN2at6native30tinygemm_m16n8k16_chunk_kernelINS0_10ALayout_RMILNS0_14KReductionTypeE0EEENS0_15BLayout_TC_int4ILi8ELi64EEES4_Li8ELi8EEEvPKvS8_S8_Pviiiiii,comdat
	.protected	_ZN2at6native30tinygemm_m16n8k16_chunk_kernelINS0_10ALayout_RMILNS0_14KReductionTypeE0EEENS0_15BLayout_TC_int4ILi8ELi64EEES4_Li8ELi8EEEvPKvS8_S8_Pviiiiii ; -- Begin function _ZN2at6native30tinygemm_m16n8k16_chunk_kernelINS0_10ALayout_RMILNS0_14KReductionTypeE0EEENS0_15BLayout_TC_int4ILi8ELi64EEES4_Li8ELi8EEEvPKvS8_S8_Pviiiiii
	.globl	_ZN2at6native30tinygemm_m16n8k16_chunk_kernelINS0_10ALayout_RMILNS0_14KReductionTypeE0EEENS0_15BLayout_TC_int4ILi8ELi64EEES4_Li8ELi8EEEvPKvS8_S8_Pviiiiii
	.p2align	8
	.type	_ZN2at6native30tinygemm_m16n8k16_chunk_kernelINS0_10ALayout_RMILNS0_14KReductionTypeE0EEENS0_15BLayout_TC_int4ILi8ELi64EEES4_Li8ELi8EEEvPKvS8_S8_Pviiiiii,@function
_ZN2at6native30tinygemm_m16n8k16_chunk_kernelINS0_10ALayout_RMILNS0_14KReductionTypeE0EEENS0_15BLayout_TC_int4ILi8ELi64EEES4_Li8ELi8EEEvPKvS8_S8_Pviiiiii: ; @_ZN2at6native30tinygemm_m16n8k16_chunk_kernelINS0_10ALayout_RMILNS0_14KReductionTypeE0EEENS0_15BLayout_TC_int4ILi8ELi64EEES4_Li8ELi8EEEvPKvS8_S8_Pviiiiii
; %bb.0:
	s_load_b64 s[2:3], s[0:1], 0x88
	v_mbcnt_lo_u32_b32 v32, -1, 0
	v_mov_b64_e32 v[2:3], 0
	s_wait_xcnt 0x0
	s_delay_alu instid0(VALU_DEP_2) | instskip(NEXT) | instid1(VALU_DEP_1)
	v_readfirstlane_b32 s0, v32
	v_cmp_eq_u32_e64 s0, s0, v32
	s_and_saveexec_b32 s1, s0
	s_cbranch_execz .LBB5_6
; %bb.1:
	v_mov_b32_e32 v0, 0
	s_mov_b32 s4, exec_lo
	s_wait_kmcnt 0x0
	global_load_b64 v[4:5], v0, s[2:3] offset:24 scope:SCOPE_SYS
	s_wait_loadcnt 0x0
	global_inv scope:SCOPE_SYS
	s_clause 0x1
	global_load_b64 v[2:3], v0, s[2:3] offset:40
	global_load_b64 v[6:7], v0, s[2:3]
	s_wait_loadcnt 0x1
	v_and_b32_e32 v2, v2, v4
	v_and_b32_e32 v3, v3, v5
	s_delay_alu instid0(VALU_DEP_1) | instskip(SKIP_1) | instid1(VALU_DEP_1)
	v_mul_u64_e32 v[2:3], 24, v[2:3]
	s_wait_loadcnt 0x0
	v_add_nc_u64_e32 v[2:3], v[6:7], v[2:3]
	global_load_b64 v[2:3], v[2:3], off scope:SCOPE_SYS
	s_wait_xcnt 0x0
	s_wait_loadcnt 0x0
	global_atomic_cmpswap_b64 v[2:3], v0, v[2:5], s[2:3] offset:24 th:TH_ATOMIC_RETURN scope:SCOPE_SYS
	s_wait_loadcnt 0x0
	global_inv scope:SCOPE_SYS
	s_wait_xcnt 0x0
	v_cmpx_ne_u64_e64 v[2:3], v[4:5]
	s_cbranch_execz .LBB5_5
; %bb.2:
	s_mov_b32 s5, 0
.LBB5_3:                                ; =>This Inner Loop Header: Depth=1
	s_sleep 1
	s_clause 0x1
	global_load_b64 v[6:7], v0, s[2:3] offset:40
	global_load_b64 v[8:9], v0, s[2:3]
	v_mov_b64_e32 v[4:5], v[2:3]
	s_wait_loadcnt 0x1
	s_delay_alu instid0(VALU_DEP_1) | instskip(SKIP_1) | instid1(VALU_DEP_1)
	v_and_b32_e32 v1, v6, v4
	s_wait_loadcnt 0x0
	v_mad_nc_u64_u32 v[2:3], v1, 24, v[8:9]
	s_delay_alu instid0(VALU_DEP_3) | instskip(NEXT) | instid1(VALU_DEP_1)
	v_and_b32_e32 v1, v7, v5
	v_mad_u32 v3, v1, 24, v3
	global_load_b64 v[2:3], v[2:3], off scope:SCOPE_SYS
	s_wait_xcnt 0x0
	s_wait_loadcnt 0x0
	global_atomic_cmpswap_b64 v[2:3], v0, v[2:5], s[2:3] offset:24 th:TH_ATOMIC_RETURN scope:SCOPE_SYS
	s_wait_loadcnt 0x0
	global_inv scope:SCOPE_SYS
	v_cmp_eq_u64_e32 vcc_lo, v[2:3], v[4:5]
	s_or_b32 s5, vcc_lo, s5
	s_wait_xcnt 0x0
	s_and_not1_b32 exec_lo, exec_lo, s5
	s_cbranch_execnz .LBB5_3
; %bb.4:
	s_or_b32 exec_lo, exec_lo, s5
.LBB5_5:
	s_delay_alu instid0(SALU_CYCLE_1)
	s_or_b32 exec_lo, exec_lo, s4
.LBB5_6:
	s_delay_alu instid0(SALU_CYCLE_1)
	s_or_b32 exec_lo, exec_lo, s1
	v_readfirstlane_b32 s4, v2
	v_mov_b32_e32 v1, 0
	v_readfirstlane_b32 s5, v3
	s_mov_b32 s1, exec_lo
	s_wait_kmcnt 0x0
	s_clause 0x1
	global_load_b64 v[8:9], v1, s[2:3] offset:40
	global_load_b128 v[4:7], v1, s[2:3]
	s_wait_loadcnt 0x1
	v_and_b32_e32 v10, s4, v8
	v_and_b32_e32 v11, s5, v9
	s_delay_alu instid0(VALU_DEP_1) | instskip(SKIP_1) | instid1(VALU_DEP_1)
	v_mul_u64_e32 v[2:3], 24, v[10:11]
	s_wait_loadcnt 0x0
	v_add_nc_u64_e32 v[8:9], v[4:5], v[2:3]
	s_and_saveexec_b32 s6, s0
	s_cbranch_execz .LBB5_8
; %bb.7:
	v_mov_b64_e32 v[2:3], 0x100000002
	v_mov_b32_e32 v0, s1
	global_store_b128 v[8:9], v[0:3], off offset:8
.LBB5_8:
	s_wait_xcnt 0x0
	s_or_b32 exec_lo, exec_lo, s6
	v_lshlrev_b64_e32 v[2:3], 12, v[10:11]
	s_mov_b32 s8, 0
	v_dual_lshlrev_b32 v0, 6, v32 :: v_dual_mov_b32 v10, 33
	s_mov_b32 s10, s8
	s_mov_b32 s11, s8
	;; [unrolled: 1-line block ×3, first 2 shown]
	s_delay_alu instid0(VALU_DEP_2)
	v_add_nc_u64_e32 v[6:7], v[6:7], v[2:3]
	v_mov_b64_e32 v[16:17], s[10:11]
	v_mov_b64_e32 v[14:15], s[8:9]
	v_dual_mov_b32 v11, v1 :: v_dual_mov_b32 v12, v1
	v_mov_b32_e32 v13, v1
	v_readfirstlane_b32 s6, v6
	v_readfirstlane_b32 s7, v7
	s_clause 0x3
	global_store_b128 v0, v[10:13], s[6:7]
	global_store_b128 v0, v[14:17], s[6:7] offset:16
	global_store_b128 v0, v[14:17], s[6:7] offset:32
	;; [unrolled: 1-line block ×3, first 2 shown]
	s_wait_xcnt 0x0
	s_and_saveexec_b32 s1, s0
	s_cbranch_execz .LBB5_16
; %bb.9:
	v_dual_mov_b32 v12, 0 :: v_dual_mov_b32 v15, s5
	s_mov_b32 s6, exec_lo
	s_clause 0x1
	global_load_b64 v[16:17], v12, s[2:3] offset:32 scope:SCOPE_SYS
	global_load_b64 v[2:3], v12, s[2:3] offset:40
	s_wait_loadcnt 0x0
	v_dual_mov_b32 v14, s4 :: v_dual_bitop2_b32 v3, s5, v3 bitop3:0x40
	v_and_b32_e32 v2, s4, v2
	s_delay_alu instid0(VALU_DEP_1) | instskip(NEXT) | instid1(VALU_DEP_1)
	v_mul_u64_e32 v[2:3], 24, v[2:3]
	v_add_nc_u64_e32 v[10:11], v[4:5], v[2:3]
	global_store_b64 v[10:11], v[16:17], off
	global_wb scope:SCOPE_SYS
	s_wait_storecnt 0x0
	s_wait_xcnt 0x0
	global_atomic_cmpswap_b64 v[4:5], v12, v[14:17], s[2:3] offset:32 th:TH_ATOMIC_RETURN scope:SCOPE_SYS
	s_wait_loadcnt 0x0
	v_cmpx_ne_u64_e64 v[4:5], v[16:17]
	s_cbranch_execz .LBB5_12
; %bb.10:
	s_mov_b32 s7, 0
.LBB5_11:                               ; =>This Inner Loop Header: Depth=1
	v_dual_mov_b32 v2, s4 :: v_dual_mov_b32 v3, s5
	s_sleep 1
	global_store_b64 v[10:11], v[4:5], off
	global_wb scope:SCOPE_SYS
	s_wait_storecnt 0x0
	s_wait_xcnt 0x0
	global_atomic_cmpswap_b64 v[2:3], v12, v[2:5], s[2:3] offset:32 th:TH_ATOMIC_RETURN scope:SCOPE_SYS
	s_wait_loadcnt 0x0
	v_cmp_eq_u64_e32 vcc_lo, v[2:3], v[4:5]
	v_mov_b64_e32 v[4:5], v[2:3]
	s_or_b32 s7, vcc_lo, s7
	s_delay_alu instid0(SALU_CYCLE_1)
	s_and_not1_b32 exec_lo, exec_lo, s7
	s_cbranch_execnz .LBB5_11
.LBB5_12:
	s_or_b32 exec_lo, exec_lo, s6
	v_mov_b32_e32 v5, 0
	s_mov_b32 s7, exec_lo
	s_mov_b32 s6, exec_lo
	v_mbcnt_lo_u32_b32 v4, s7, 0
	global_load_b64 v[2:3], v5, s[2:3] offset:16
	s_wait_xcnt 0x0
	v_cmpx_eq_u32_e32 0, v4
	s_cbranch_execz .LBB5_14
; %bb.13:
	s_bcnt1_i32_b32 s7, s7
	s_delay_alu instid0(SALU_CYCLE_1)
	v_mov_b32_e32 v4, s7
	global_wb scope:SCOPE_SYS
	s_wait_loadcnt 0x0
	s_wait_storecnt 0x0
	global_atomic_add_u64 v[2:3], v[4:5], off offset:8 scope:SCOPE_SYS
.LBB5_14:
	s_wait_xcnt 0x0
	s_or_b32 exec_lo, exec_lo, s6
	s_wait_loadcnt 0x0
	global_load_b64 v[4:5], v[2:3], off offset:16
	s_wait_loadcnt 0x0
	v_cmp_eq_u64_e32 vcc_lo, 0, v[4:5]
	s_cbranch_vccnz .LBB5_16
; %bb.15:
	global_load_b32 v2, v[2:3], off offset:24
	s_wait_xcnt 0x0
	v_mov_b32_e32 v3, 0
	s_wait_loadcnt 0x0
	v_readfirstlane_b32 s6, v2
	global_wb scope:SCOPE_SYS
	s_wait_storecnt 0x0
	global_store_b64 v[4:5], v[2:3], off scope:SCOPE_SYS
	s_and_b32 m0, s6, 0xffffff
	s_sendmsg sendmsg(MSG_INTERRUPT)
.LBB5_16:
	s_wait_xcnt 0x0
	s_or_b32 exec_lo, exec_lo, s1
	v_add_nc_u64_e32 v[2:3], v[6:7], v[0:1]
	s_branch .LBB5_20
.LBB5_17:                               ;   in Loop: Header=BB5_20 Depth=1
	s_wait_xcnt 0x0
	s_or_b32 exec_lo, exec_lo, s1
	s_delay_alu instid0(VALU_DEP_1)
	v_readfirstlane_b32 s1, v1
	s_cmp_eq_u32 s1, 0
	s_cbranch_scc1 .LBB5_19
; %bb.18:                               ;   in Loop: Header=BB5_20 Depth=1
	s_sleep 1
	s_cbranch_execnz .LBB5_20
	s_branch .LBB5_22
.LBB5_19:
	s_branch .LBB5_22
.LBB5_20:                               ; =>This Inner Loop Header: Depth=1
	v_mov_b32_e32 v1, 1
	s_and_saveexec_b32 s1, s0
	s_cbranch_execz .LBB5_17
; %bb.21:                               ;   in Loop: Header=BB5_20 Depth=1
	global_load_b32 v1, v[8:9], off offset:20 scope:SCOPE_SYS
	s_wait_loadcnt 0x0
	global_inv scope:SCOPE_SYS
	v_and_b32_e32 v1, 1, v1
	s_branch .LBB5_17
.LBB5_22:
	global_load_b64 v[2:3], v[2:3], off
	s_wait_xcnt 0x0
	s_and_saveexec_b32 s6, s0
	s_cbranch_execz .LBB5_26
; %bb.23:
	v_mov_b32_e32 v1, 0
	s_clause 0x2
	global_load_b64 v[4:5], v1, s[2:3] offset:40
	global_load_b64 v[12:13], v1, s[2:3] offset:24 scope:SCOPE_SYS
	global_load_b64 v[6:7], v1, s[2:3]
	s_wait_loadcnt 0x2
	v_readfirstlane_b32 s8, v4
	v_readfirstlane_b32 s9, v5
	s_add_nc_u64 s[0:1], s[8:9], 1
	s_delay_alu instid0(SALU_CYCLE_1) | instskip(NEXT) | instid1(SALU_CYCLE_1)
	s_add_nc_u64 s[4:5], s[0:1], s[4:5]
	s_cmp_eq_u64 s[4:5], 0
	s_cselect_b32 s1, s1, s5
	s_cselect_b32 s0, s0, s4
	v_mov_b32_e32 v11, s1
	s_and_b64 s[4:5], s[0:1], s[8:9]
	v_mov_b32_e32 v10, s0
	s_mul_u64 s[4:5], s[4:5], 24
	s_wait_loadcnt 0x0
	v_add_nc_u64_e32 v[8:9], s[4:5], v[6:7]
	global_store_b64 v[8:9], v[12:13], off
	global_wb scope:SCOPE_SYS
	s_wait_storecnt 0x0
	s_wait_xcnt 0x0
	global_atomic_cmpswap_b64 v[6:7], v1, v[10:13], s[2:3] offset:24 th:TH_ATOMIC_RETURN scope:SCOPE_SYS
	s_wait_loadcnt 0x0
	v_cmp_ne_u64_e32 vcc_lo, v[6:7], v[12:13]
	s_and_b32 exec_lo, exec_lo, vcc_lo
	s_cbranch_execz .LBB5_26
; %bb.24:
	s_mov_b32 s4, 0
.LBB5_25:                               ; =>This Inner Loop Header: Depth=1
	v_dual_mov_b32 v4, s0 :: v_dual_mov_b32 v5, s1
	s_sleep 1
	global_store_b64 v[8:9], v[6:7], off
	global_wb scope:SCOPE_SYS
	s_wait_storecnt 0x0
	s_wait_xcnt 0x0
	global_atomic_cmpswap_b64 v[4:5], v1, v[4:7], s[2:3] offset:24 th:TH_ATOMIC_RETURN scope:SCOPE_SYS
	s_wait_loadcnt 0x0
	v_cmp_eq_u64_e32 vcc_lo, v[4:5], v[6:7]
	v_mov_b64_e32 v[6:7], v[4:5]
	s_or_b32 s4, vcc_lo, s4
	s_delay_alu instid0(SALU_CYCLE_1)
	s_and_not1_b32 exec_lo, exec_lo, s4
	s_cbranch_execnz .LBB5_25
.LBB5_26:
	s_or_b32 exec_lo, exec_lo, s6
	s_get_pc_i64 s[4:5]
	s_add_nc_u64 s[4:5], s[4:5], .str@rel64+4
	s_mov_b64 s[6:7], 0
	s_cmp_lg_u64 s[4:5], 0
	s_cselect_b32 s8, -1, 0
	s_cmp_eq_u64 s[4:5], 0
	s_cbranch_scc1 .LBB5_30
; %bb.27:
	s_get_pc_i64 s[0:1]
	s_add_nc_u64 s[0:1], s[0:1], .str@rel64+3
.LBB5_28:                               ; =>This Inner Loop Header: Depth=1
	s_load_u8 s6, s[0:1], 0x1
	s_wait_xcnt 0x0
	s_add_nc_u64 s[0:1], s[0:1], 1
	s_wait_kmcnt 0x0
	s_cmp_lg_u32 s6, 0
	s_cbranch_scc1 .LBB5_28
; %bb.29:
	s_get_pc_i64 s[6:7]
	s_add_nc_u64 s[6:7], s[6:7], .str@rel64+4
	s_delay_alu instid0(SALU_CYCLE_1) | instskip(NEXT) | instid1(SALU_CYCLE_1)
	s_sub_nc_u64 s[0:1], s[0:1], s[6:7]
	s_add_nc_u64 s[6:7], s[0:1], 1
.LBB5_30:
	s_and_b32 vcc_lo, exec_lo, s8
	s_cbranch_vccz .LBB5_109
; %bb.31:
	v_mov_b64_e32 v[6:7], 0x100000002
	s_wait_loadcnt 0x0
	v_dual_mov_b32 v9, v3 :: v_dual_bitop2_b32 v8, -3, v2 bitop3:0x40
	v_mov_b32_e32 v5, 0
	s_branch .LBB5_33
.LBB5_32:                               ;   in Loop: Header=BB5_33 Depth=1
	s_or_b32 exec_lo, exec_lo, s12
	s_sub_nc_u64 s[6:7], s[6:7], s[8:9]
	s_add_nc_u64 s[4:5], s[4:5], s[8:9]
	s_cmp_lg_u64 s[6:7], 0
	s_cbranch_scc0 .LBB5_108
.LBB5_33:                               ; =>This Loop Header: Depth=1
                                        ;     Child Loop BB5_36 Depth 2
                                        ;     Child Loop BB5_43 Depth 2
	;; [unrolled: 1-line block ×11, first 2 shown]
	s_wait_loadcnt 0x0
	v_min_u64 v[10:11], s[6:7], 56
	v_cmp_gt_u64_e64 s0, s[6:7], 7
	s_and_b32 vcc_lo, exec_lo, s0
	v_readfirstlane_b32 s8, v10
	v_readfirstlane_b32 s9, v11
	s_cbranch_vccnz .LBB5_38
; %bb.34:                               ;   in Loop: Header=BB5_33 Depth=1
	v_mov_b64_e32 v[10:11], 0
	s_cmp_eq_u64 s[6:7], 0
	s_cbranch_scc1 .LBB5_37
; %bb.35:                               ;   in Loop: Header=BB5_33 Depth=1
	s_mov_b64 s[0:1], 0
	s_mov_b64 s[10:11], 0
.LBB5_36:                               ;   Parent Loop BB5_33 Depth=1
                                        ; =>  This Inner Loop Header: Depth=2
	s_wait_xcnt 0x0
	s_add_nc_u64 s[12:13], s[4:5], s[10:11]
	s_add_nc_u64 s[10:11], s[10:11], 1
	global_load_u8 v1, v5, s[12:13]
	s_cmp_lg_u32 s8, s10
	s_wait_loadcnt 0x0
	v_and_b32_e32 v4, 0xffff, v1
	s_delay_alu instid0(VALU_DEP_1) | instskip(SKIP_1) | instid1(VALU_DEP_1)
	v_lshlrev_b64_e32 v[12:13], s0, v[4:5]
	s_add_nc_u64 s[0:1], s[0:1], 8
	v_or_b32_e32 v10, v12, v10
	s_delay_alu instid0(VALU_DEP_2)
	v_or_b32_e32 v11, v13, v11
	s_cbranch_scc1 .LBB5_36
.LBB5_37:                               ;   in Loop: Header=BB5_33 Depth=1
	s_mov_b64 s[10:11], s[4:5]
	s_mov_b32 s14, 0
	s_cbranch_execz .LBB5_39
	s_branch .LBB5_40
.LBB5_38:                               ;   in Loop: Header=BB5_33 Depth=1
	s_add_nc_u64 s[10:11], s[4:5], 8
	s_mov_b32 s14, 0
.LBB5_39:                               ;   in Loop: Header=BB5_33 Depth=1
	global_load_b64 v[10:11], v5, s[4:5]
	s_add_co_i32 s14, s8, -8
.LBB5_40:                               ;   in Loop: Header=BB5_33 Depth=1
	s_delay_alu instid0(SALU_CYCLE_1)
	s_cmp_gt_u32 s14, 7
	s_cbranch_scc1 .LBB5_45
; %bb.41:                               ;   in Loop: Header=BB5_33 Depth=1
	v_mov_b64_e32 v[12:13], 0
	s_cmp_eq_u32 s14, 0
	s_cbranch_scc1 .LBB5_44
; %bb.42:                               ;   in Loop: Header=BB5_33 Depth=1
	s_mov_b64 s[0:1], 0
	s_wait_xcnt 0x0
	s_mov_b64 s[12:13], 0
.LBB5_43:                               ;   Parent Loop BB5_33 Depth=1
                                        ; =>  This Inner Loop Header: Depth=2
	s_wait_xcnt 0x0
	s_add_nc_u64 s[16:17], s[10:11], s[12:13]
	s_add_nc_u64 s[12:13], s[12:13], 1
	global_load_u8 v1, v5, s[16:17]
	s_cmp_lg_u32 s14, s12
	s_wait_loadcnt 0x0
	v_and_b32_e32 v4, 0xffff, v1
	s_delay_alu instid0(VALU_DEP_1) | instskip(SKIP_1) | instid1(VALU_DEP_1)
	v_lshlrev_b64_e32 v[14:15], s0, v[4:5]
	s_add_nc_u64 s[0:1], s[0:1], 8
	v_or_b32_e32 v12, v14, v12
	s_delay_alu instid0(VALU_DEP_2)
	v_or_b32_e32 v13, v15, v13
	s_cbranch_scc1 .LBB5_43
.LBB5_44:                               ;   in Loop: Header=BB5_33 Depth=1
	s_wait_xcnt 0x0
	s_mov_b64 s[0:1], s[10:11]
	s_mov_b32 s15, 0
	s_cbranch_execz .LBB5_46
	s_branch .LBB5_47
.LBB5_45:                               ;   in Loop: Header=BB5_33 Depth=1
	s_add_nc_u64 s[0:1], s[10:11], 8
	s_wait_xcnt 0x0
                                        ; implicit-def: $vgpr12_vgpr13
	s_mov_b32 s15, 0
.LBB5_46:                               ;   in Loop: Header=BB5_33 Depth=1
	global_load_b64 v[12:13], v5, s[10:11]
	s_add_co_i32 s15, s14, -8
.LBB5_47:                               ;   in Loop: Header=BB5_33 Depth=1
	s_delay_alu instid0(SALU_CYCLE_1)
	s_cmp_gt_u32 s15, 7
	s_cbranch_scc1 .LBB5_52
; %bb.48:                               ;   in Loop: Header=BB5_33 Depth=1
	v_mov_b64_e32 v[14:15], 0
	s_cmp_eq_u32 s15, 0
	s_cbranch_scc1 .LBB5_51
; %bb.49:                               ;   in Loop: Header=BB5_33 Depth=1
	s_wait_xcnt 0x0
	s_mov_b64 s[10:11], 0
	s_mov_b64 s[12:13], 0
.LBB5_50:                               ;   Parent Loop BB5_33 Depth=1
                                        ; =>  This Inner Loop Header: Depth=2
	s_wait_xcnt 0x0
	s_add_nc_u64 s[16:17], s[0:1], s[12:13]
	s_add_nc_u64 s[12:13], s[12:13], 1
	global_load_u8 v1, v5, s[16:17]
	s_cmp_lg_u32 s15, s12
	s_wait_loadcnt 0x0
	v_and_b32_e32 v4, 0xffff, v1
	s_delay_alu instid0(VALU_DEP_1) | instskip(SKIP_1) | instid1(VALU_DEP_1)
	v_lshlrev_b64_e32 v[16:17], s10, v[4:5]
	s_add_nc_u64 s[10:11], s[10:11], 8
	v_or_b32_e32 v14, v16, v14
	s_delay_alu instid0(VALU_DEP_2)
	v_or_b32_e32 v15, v17, v15
	s_cbranch_scc1 .LBB5_50
.LBB5_51:                               ;   in Loop: Header=BB5_33 Depth=1
	s_wait_xcnt 0x0
	s_mov_b64 s[10:11], s[0:1]
	s_mov_b32 s14, 0
	s_cbranch_execz .LBB5_53
	s_branch .LBB5_54
.LBB5_52:                               ;   in Loop: Header=BB5_33 Depth=1
	s_wait_xcnt 0x0
	s_add_nc_u64 s[10:11], s[0:1], 8
	s_mov_b32 s14, 0
.LBB5_53:                               ;   in Loop: Header=BB5_33 Depth=1
	global_load_b64 v[14:15], v5, s[0:1]
	s_add_co_i32 s14, s15, -8
.LBB5_54:                               ;   in Loop: Header=BB5_33 Depth=1
	s_delay_alu instid0(SALU_CYCLE_1)
	s_cmp_gt_u32 s14, 7
	s_cbranch_scc1 .LBB5_59
; %bb.55:                               ;   in Loop: Header=BB5_33 Depth=1
	v_mov_b64_e32 v[16:17], 0
	s_cmp_eq_u32 s14, 0
	s_cbranch_scc1 .LBB5_58
; %bb.56:                               ;   in Loop: Header=BB5_33 Depth=1
	s_wait_xcnt 0x0
	s_mov_b64 s[0:1], 0
	s_mov_b64 s[12:13], 0
.LBB5_57:                               ;   Parent Loop BB5_33 Depth=1
                                        ; =>  This Inner Loop Header: Depth=2
	s_wait_xcnt 0x0
	s_add_nc_u64 s[16:17], s[10:11], s[12:13]
	s_add_nc_u64 s[12:13], s[12:13], 1
	global_load_u8 v1, v5, s[16:17]
	s_cmp_lg_u32 s14, s12
	s_wait_loadcnt 0x0
	v_and_b32_e32 v4, 0xffff, v1
	s_delay_alu instid0(VALU_DEP_1) | instskip(SKIP_1) | instid1(VALU_DEP_1)
	v_lshlrev_b64_e32 v[18:19], s0, v[4:5]
	s_add_nc_u64 s[0:1], s[0:1], 8
	v_or_b32_e32 v16, v18, v16
	s_delay_alu instid0(VALU_DEP_2)
	v_or_b32_e32 v17, v19, v17
	s_cbranch_scc1 .LBB5_57
.LBB5_58:                               ;   in Loop: Header=BB5_33 Depth=1
	s_wait_xcnt 0x0
	s_mov_b64 s[0:1], s[10:11]
	s_mov_b32 s15, 0
	s_cbranch_execz .LBB5_60
	s_branch .LBB5_61
.LBB5_59:                               ;   in Loop: Header=BB5_33 Depth=1
	s_wait_xcnt 0x0
	s_add_nc_u64 s[0:1], s[10:11], 8
                                        ; implicit-def: $vgpr16_vgpr17
	s_mov_b32 s15, 0
.LBB5_60:                               ;   in Loop: Header=BB5_33 Depth=1
	global_load_b64 v[16:17], v5, s[10:11]
	s_add_co_i32 s15, s14, -8
.LBB5_61:                               ;   in Loop: Header=BB5_33 Depth=1
	s_delay_alu instid0(SALU_CYCLE_1)
	s_cmp_gt_u32 s15, 7
	s_cbranch_scc1 .LBB5_66
; %bb.62:                               ;   in Loop: Header=BB5_33 Depth=1
	v_mov_b64_e32 v[18:19], 0
	s_cmp_eq_u32 s15, 0
	s_cbranch_scc1 .LBB5_65
; %bb.63:                               ;   in Loop: Header=BB5_33 Depth=1
	s_wait_xcnt 0x0
	s_mov_b64 s[10:11], 0
	s_mov_b64 s[12:13], 0
.LBB5_64:                               ;   Parent Loop BB5_33 Depth=1
                                        ; =>  This Inner Loop Header: Depth=2
	s_wait_xcnt 0x0
	s_add_nc_u64 s[16:17], s[0:1], s[12:13]
	s_add_nc_u64 s[12:13], s[12:13], 1
	global_load_u8 v1, v5, s[16:17]
	s_cmp_lg_u32 s15, s12
	s_wait_loadcnt 0x0
	v_and_b32_e32 v4, 0xffff, v1
	s_delay_alu instid0(VALU_DEP_1) | instskip(SKIP_1) | instid1(VALU_DEP_1)
	v_lshlrev_b64_e32 v[20:21], s10, v[4:5]
	s_add_nc_u64 s[10:11], s[10:11], 8
	v_or_b32_e32 v18, v20, v18
	s_delay_alu instid0(VALU_DEP_2)
	v_or_b32_e32 v19, v21, v19
	s_cbranch_scc1 .LBB5_64
.LBB5_65:                               ;   in Loop: Header=BB5_33 Depth=1
	s_wait_xcnt 0x0
	s_mov_b64 s[10:11], s[0:1]
	s_mov_b32 s14, 0
	s_cbranch_execz .LBB5_67
	s_branch .LBB5_68
.LBB5_66:                               ;   in Loop: Header=BB5_33 Depth=1
	s_wait_xcnt 0x0
	s_add_nc_u64 s[10:11], s[0:1], 8
	s_mov_b32 s14, 0
.LBB5_67:                               ;   in Loop: Header=BB5_33 Depth=1
	global_load_b64 v[18:19], v5, s[0:1]
	s_add_co_i32 s14, s15, -8
.LBB5_68:                               ;   in Loop: Header=BB5_33 Depth=1
	s_delay_alu instid0(SALU_CYCLE_1)
	s_cmp_gt_u32 s14, 7
	s_cbranch_scc1 .LBB5_73
; %bb.69:                               ;   in Loop: Header=BB5_33 Depth=1
	v_mov_b64_e32 v[20:21], 0
	s_cmp_eq_u32 s14, 0
	s_cbranch_scc1 .LBB5_72
; %bb.70:                               ;   in Loop: Header=BB5_33 Depth=1
	s_wait_xcnt 0x0
	s_mov_b64 s[0:1], 0
	s_mov_b64 s[12:13], 0
.LBB5_71:                               ;   Parent Loop BB5_33 Depth=1
                                        ; =>  This Inner Loop Header: Depth=2
	s_wait_xcnt 0x0
	s_add_nc_u64 s[16:17], s[10:11], s[12:13]
	s_add_nc_u64 s[12:13], s[12:13], 1
	global_load_u8 v1, v5, s[16:17]
	s_cmp_lg_u32 s14, s12
	s_wait_loadcnt 0x0
	v_and_b32_e32 v4, 0xffff, v1
	s_delay_alu instid0(VALU_DEP_1) | instskip(SKIP_1) | instid1(VALU_DEP_1)
	v_lshlrev_b64_e32 v[22:23], s0, v[4:5]
	s_add_nc_u64 s[0:1], s[0:1], 8
	v_or_b32_e32 v20, v22, v20
	s_delay_alu instid0(VALU_DEP_2)
	v_or_b32_e32 v21, v23, v21
	s_cbranch_scc1 .LBB5_71
.LBB5_72:                               ;   in Loop: Header=BB5_33 Depth=1
	s_wait_xcnt 0x0
	s_mov_b64 s[0:1], s[10:11]
	s_mov_b32 s15, 0
	s_cbranch_execz .LBB5_74
	s_branch .LBB5_75
.LBB5_73:                               ;   in Loop: Header=BB5_33 Depth=1
	s_wait_xcnt 0x0
	s_add_nc_u64 s[0:1], s[10:11], 8
                                        ; implicit-def: $vgpr20_vgpr21
	s_mov_b32 s15, 0
.LBB5_74:                               ;   in Loop: Header=BB5_33 Depth=1
	global_load_b64 v[20:21], v5, s[10:11]
	s_add_co_i32 s15, s14, -8
.LBB5_75:                               ;   in Loop: Header=BB5_33 Depth=1
	s_delay_alu instid0(SALU_CYCLE_1)
	s_cmp_gt_u32 s15, 7
	s_cbranch_scc1 .LBB5_80
; %bb.76:                               ;   in Loop: Header=BB5_33 Depth=1
	v_mov_b64_e32 v[22:23], 0
	s_cmp_eq_u32 s15, 0
	s_cbranch_scc1 .LBB5_79
; %bb.77:                               ;   in Loop: Header=BB5_33 Depth=1
	s_wait_xcnt 0x0
	s_mov_b64 s[10:11], 0
	s_mov_b64 s[12:13], s[0:1]
.LBB5_78:                               ;   Parent Loop BB5_33 Depth=1
                                        ; =>  This Inner Loop Header: Depth=2
	global_load_u8 v1, v5, s[12:13]
	s_add_co_i32 s15, s15, -1
	s_wait_xcnt 0x0
	s_add_nc_u64 s[12:13], s[12:13], 1
	s_cmp_lg_u32 s15, 0
	s_wait_loadcnt 0x0
	v_and_b32_e32 v4, 0xffff, v1
	s_delay_alu instid0(VALU_DEP_1) | instskip(SKIP_1) | instid1(VALU_DEP_1)
	v_lshlrev_b64_e32 v[24:25], s10, v[4:5]
	s_add_nc_u64 s[10:11], s[10:11], 8
	v_or_b32_e32 v22, v24, v22
	s_delay_alu instid0(VALU_DEP_2)
	v_or_b32_e32 v23, v25, v23
	s_cbranch_scc1 .LBB5_78
.LBB5_79:                               ;   in Loop: Header=BB5_33 Depth=1
	s_wait_xcnt 0x0
	s_cbranch_execz .LBB5_81
	s_branch .LBB5_82
.LBB5_80:                               ;   in Loop: Header=BB5_33 Depth=1
	s_wait_xcnt 0x0
.LBB5_81:                               ;   in Loop: Header=BB5_33 Depth=1
	global_load_b64 v[22:23], v5, s[0:1]
.LBB5_82:                               ;   in Loop: Header=BB5_33 Depth=1
	s_wait_xcnt 0x0
	v_readfirstlane_b32 s0, v32
	v_mov_b64_e32 v[28:29], 0
	s_delay_alu instid0(VALU_DEP_2)
	v_cmp_eq_u32_e64 s0, s0, v32
	s_and_saveexec_b32 s1, s0
	s_cbranch_execz .LBB5_88
; %bb.83:                               ;   in Loop: Header=BB5_33 Depth=1
	global_load_b64 v[26:27], v5, s[2:3] offset:24 scope:SCOPE_SYS
	s_wait_loadcnt 0x0
	global_inv scope:SCOPE_SYS
	s_clause 0x1
	global_load_b64 v[24:25], v5, s[2:3] offset:40
	global_load_b64 v[28:29], v5, s[2:3]
	s_mov_b32 s10, exec_lo
	s_wait_loadcnt 0x1
	v_and_b32_e32 v24, v24, v26
	v_and_b32_e32 v25, v25, v27
	s_delay_alu instid0(VALU_DEP_1) | instskip(SKIP_1) | instid1(VALU_DEP_1)
	v_mul_u64_e32 v[24:25], 24, v[24:25]
	s_wait_loadcnt 0x0
	v_add_nc_u64_e32 v[24:25], v[28:29], v[24:25]
	global_load_b64 v[24:25], v[24:25], off scope:SCOPE_SYS
	s_wait_xcnt 0x0
	s_wait_loadcnt 0x0
	global_atomic_cmpswap_b64 v[28:29], v5, v[24:27], s[2:3] offset:24 th:TH_ATOMIC_RETURN scope:SCOPE_SYS
	s_wait_loadcnt 0x0
	global_inv scope:SCOPE_SYS
	s_wait_xcnt 0x0
	v_cmpx_ne_u64_e64 v[28:29], v[26:27]
	s_cbranch_execz .LBB5_87
; %bb.84:                               ;   in Loop: Header=BB5_33 Depth=1
	s_mov_b32 s11, 0
.LBB5_85:                               ;   Parent Loop BB5_33 Depth=1
                                        ; =>  This Inner Loop Header: Depth=2
	s_sleep 1
	s_clause 0x1
	global_load_b64 v[24:25], v5, s[2:3] offset:40
	global_load_b64 v[30:31], v5, s[2:3]
	v_mov_b64_e32 v[26:27], v[28:29]
	s_wait_loadcnt 0x1
	s_delay_alu instid0(VALU_DEP_1) | instskip(SKIP_1) | instid1(VALU_DEP_1)
	v_and_b32_e32 v1, v24, v26
	s_wait_loadcnt 0x0
	v_mad_nc_u64_u32 v[28:29], v1, 24, v[30:31]
	s_delay_alu instid0(VALU_DEP_3) | instskip(NEXT) | instid1(VALU_DEP_1)
	v_and_b32_e32 v1, v25, v27
	v_mad_u32 v29, v1, 24, v29
	global_load_b64 v[24:25], v[28:29], off scope:SCOPE_SYS
	s_wait_xcnt 0x0
	s_wait_loadcnt 0x0
	global_atomic_cmpswap_b64 v[28:29], v5, v[24:27], s[2:3] offset:24 th:TH_ATOMIC_RETURN scope:SCOPE_SYS
	s_wait_loadcnt 0x0
	global_inv scope:SCOPE_SYS
	v_cmp_eq_u64_e32 vcc_lo, v[28:29], v[26:27]
	s_or_b32 s11, vcc_lo, s11
	s_wait_xcnt 0x0
	s_and_not1_b32 exec_lo, exec_lo, s11
	s_cbranch_execnz .LBB5_85
; %bb.86:                               ;   in Loop: Header=BB5_33 Depth=1
	s_or_b32 exec_lo, exec_lo, s11
.LBB5_87:                               ;   in Loop: Header=BB5_33 Depth=1
	s_delay_alu instid0(SALU_CYCLE_1)
	s_or_b32 exec_lo, exec_lo, s10
.LBB5_88:                               ;   in Loop: Header=BB5_33 Depth=1
	s_delay_alu instid0(SALU_CYCLE_1)
	s_or_b32 exec_lo, exec_lo, s1
	s_clause 0x1
	global_load_b64 v[30:31], v5, s[2:3] offset:40
	global_load_b128 v[24:27], v5, s[2:3]
	v_readfirstlane_b32 s10, v28
	v_readfirstlane_b32 s11, v29
	s_mov_b32 s1, exec_lo
	s_wait_loadcnt 0x1
	v_and_b32_e32 v30, s10, v30
	v_and_b32_e32 v31, s11, v31
	s_delay_alu instid0(VALU_DEP_1) | instskip(SKIP_1) | instid1(VALU_DEP_1)
	v_mul_u64_e32 v[28:29], 24, v[30:31]
	s_wait_loadcnt 0x0
	v_add_nc_u64_e32 v[28:29], v[24:25], v[28:29]
	s_wait_xcnt 0x0
	s_and_saveexec_b32 s12, s0
	s_cbranch_execz .LBB5_90
; %bb.89:                               ;   in Loop: Header=BB5_33 Depth=1
	v_mov_b32_e32 v4, s1
	global_store_b128 v[28:29], v[4:7], off offset:8
.LBB5_90:                               ;   in Loop: Header=BB5_33 Depth=1
	s_wait_xcnt 0x0
	s_or_b32 exec_lo, exec_lo, s12
	v_cmp_gt_u64_e64 s1, s[6:7], 56
	v_lshlrev_b64_e32 v[30:31], 12, v[30:31]
	v_and_b32_e32 v1, 0xffffff1f, v8
	s_and_b32 s1, s1, exec_lo
	s_delay_alu instid0(VALU_DEP_2) | instskip(SKIP_4) | instid1(VALU_DEP_2)
	v_add_nc_u64_e32 v[26:27], v[26:27], v[30:31]
	s_cselect_b32 s1, 0, 2
	s_lshl_b32 s12, s8, 2
	v_or_b32_e32 v1, s1, v1
	s_add_co_i32 s1, s12, 28
	v_readfirstlane_b32 s12, v26
	s_delay_alu instid0(VALU_DEP_3) | instskip(NEXT) | instid1(VALU_DEP_3)
	v_readfirstlane_b32 s13, v27
	v_and_or_b32 v8, 0x1e0, s1, v1
	s_clause 0x3
	global_store_b128 v0, v[8:11], s[12:13]
	global_store_b128 v0, v[12:15], s[12:13] offset:16
	global_store_b128 v0, v[16:19], s[12:13] offset:32
	;; [unrolled: 1-line block ×3, first 2 shown]
	s_wait_xcnt 0x0
	s_and_saveexec_b32 s1, s0
	s_cbranch_execz .LBB5_98
; %bb.91:                               ;   in Loop: Header=BB5_33 Depth=1
	s_clause 0x1
	global_load_b64 v[16:17], v5, s[2:3] offset:32 scope:SCOPE_SYS
	global_load_b64 v[8:9], v5, s[2:3] offset:40
	s_mov_b32 s12, exec_lo
	v_dual_mov_b32 v14, s10 :: v_dual_mov_b32 v15, s11
	s_wait_loadcnt 0x0
	v_and_b32_e32 v9, s11, v9
	v_and_b32_e32 v8, s10, v8
	s_delay_alu instid0(VALU_DEP_1) | instskip(NEXT) | instid1(VALU_DEP_1)
	v_mul_u64_e32 v[8:9], 24, v[8:9]
	v_add_nc_u64_e32 v[12:13], v[24:25], v[8:9]
	global_store_b64 v[12:13], v[16:17], off
	global_wb scope:SCOPE_SYS
	s_wait_storecnt 0x0
	s_wait_xcnt 0x0
	global_atomic_cmpswap_b64 v[10:11], v5, v[14:17], s[2:3] offset:32 th:TH_ATOMIC_RETURN scope:SCOPE_SYS
	s_wait_loadcnt 0x0
	v_cmpx_ne_u64_e64 v[10:11], v[16:17]
	s_cbranch_execz .LBB5_94
; %bb.92:                               ;   in Loop: Header=BB5_33 Depth=1
	s_mov_b32 s13, 0
.LBB5_93:                               ;   Parent Loop BB5_33 Depth=1
                                        ; =>  This Inner Loop Header: Depth=2
	v_dual_mov_b32 v8, s10 :: v_dual_mov_b32 v9, s11
	s_sleep 1
	global_store_b64 v[12:13], v[10:11], off
	global_wb scope:SCOPE_SYS
	s_wait_storecnt 0x0
	s_wait_xcnt 0x0
	global_atomic_cmpswap_b64 v[8:9], v5, v[8:11], s[2:3] offset:32 th:TH_ATOMIC_RETURN scope:SCOPE_SYS
	s_wait_loadcnt 0x0
	v_cmp_eq_u64_e32 vcc_lo, v[8:9], v[10:11]
	v_mov_b64_e32 v[10:11], v[8:9]
	s_or_b32 s13, vcc_lo, s13
	s_delay_alu instid0(SALU_CYCLE_1)
	s_and_not1_b32 exec_lo, exec_lo, s13
	s_cbranch_execnz .LBB5_93
.LBB5_94:                               ;   in Loop: Header=BB5_33 Depth=1
	s_or_b32 exec_lo, exec_lo, s12
	global_load_b64 v[8:9], v5, s[2:3] offset:16
	s_mov_b32 s13, exec_lo
	s_mov_b32 s12, exec_lo
	v_mbcnt_lo_u32_b32 v1, s13, 0
	s_wait_xcnt 0x0
	s_delay_alu instid0(VALU_DEP_1)
	v_cmpx_eq_u32_e32 0, v1
	s_cbranch_execz .LBB5_96
; %bb.95:                               ;   in Loop: Header=BB5_33 Depth=1
	s_bcnt1_i32_b32 s13, s13
	s_delay_alu instid0(SALU_CYCLE_1)
	v_mov_b32_e32 v4, s13
	global_wb scope:SCOPE_SYS
	s_wait_loadcnt 0x0
	s_wait_storecnt 0x0
	global_atomic_add_u64 v[8:9], v[4:5], off offset:8 scope:SCOPE_SYS
.LBB5_96:                               ;   in Loop: Header=BB5_33 Depth=1
	s_wait_xcnt 0x0
	s_or_b32 exec_lo, exec_lo, s12
	s_wait_loadcnt 0x0
	global_load_b64 v[10:11], v[8:9], off offset:16
	s_wait_loadcnt 0x0
	v_cmp_eq_u64_e32 vcc_lo, 0, v[10:11]
	s_cbranch_vccnz .LBB5_98
; %bb.97:                               ;   in Loop: Header=BB5_33 Depth=1
	global_load_b32 v4, v[8:9], off offset:24
	s_wait_loadcnt 0x0
	v_readfirstlane_b32 s12, v4
	global_wb scope:SCOPE_SYS
	s_wait_storecnt 0x0
	s_wait_xcnt 0x0
	global_store_b64 v[10:11], v[4:5], off scope:SCOPE_SYS
	s_and_b32 m0, s12, 0xffffff
	s_sendmsg sendmsg(MSG_INTERRUPT)
.LBB5_98:                               ;   in Loop: Header=BB5_33 Depth=1
	s_wait_xcnt 0x0
	s_or_b32 exec_lo, exec_lo, s1
	v_mov_b32_e32 v1, v5
	s_delay_alu instid0(VALU_DEP_1)
	v_add_nc_u64_e32 v[8:9], v[26:27], v[0:1]
	s_branch .LBB5_102
.LBB5_99:                               ;   in Loop: Header=BB5_102 Depth=2
	s_wait_xcnt 0x0
	s_or_b32 exec_lo, exec_lo, s1
	s_delay_alu instid0(VALU_DEP_1)
	v_readfirstlane_b32 s1, v1
	s_cmp_eq_u32 s1, 0
	s_cbranch_scc1 .LBB5_101
; %bb.100:                              ;   in Loop: Header=BB5_102 Depth=2
	s_sleep 1
	s_cbranch_execnz .LBB5_102
	s_branch .LBB5_104
.LBB5_101:                              ;   in Loop: Header=BB5_33 Depth=1
	s_branch .LBB5_104
.LBB5_102:                              ;   Parent Loop BB5_33 Depth=1
                                        ; =>  This Inner Loop Header: Depth=2
	v_mov_b32_e32 v1, 1
	s_and_saveexec_b32 s1, s0
	s_cbranch_execz .LBB5_99
; %bb.103:                              ;   in Loop: Header=BB5_102 Depth=2
	global_load_b32 v1, v[28:29], off offset:20 scope:SCOPE_SYS
	s_wait_loadcnt 0x0
	global_inv scope:SCOPE_SYS
	v_and_b32_e32 v1, 1, v1
	s_branch .LBB5_99
.LBB5_104:                              ;   in Loop: Header=BB5_33 Depth=1
	global_load_b128 v[8:11], v[8:9], off
	s_wait_xcnt 0x0
	s_and_saveexec_b32 s12, s0
	s_cbranch_execz .LBB5_32
; %bb.105:                              ;   in Loop: Header=BB5_33 Depth=1
	s_wait_loadcnt 0x0
	s_clause 0x2
	global_load_b64 v[10:11], v5, s[2:3] offset:40
	global_load_b64 v[18:19], v5, s[2:3] offset:24 scope:SCOPE_SYS
	global_load_b64 v[12:13], v5, s[2:3]
	s_wait_loadcnt 0x2
	v_readfirstlane_b32 s14, v10
	v_readfirstlane_b32 s15, v11
	s_add_nc_u64 s[0:1], s[14:15], 1
	s_delay_alu instid0(SALU_CYCLE_1) | instskip(NEXT) | instid1(SALU_CYCLE_1)
	s_add_nc_u64 s[10:11], s[0:1], s[10:11]
	s_cmp_eq_u64 s[10:11], 0
	s_cselect_b32 s1, s1, s11
	s_cselect_b32 s0, s0, s10
	s_delay_alu instid0(SALU_CYCLE_1) | instskip(SKIP_1) | instid1(SALU_CYCLE_1)
	v_dual_mov_b32 v17, s1 :: v_dual_mov_b32 v16, s0
	s_and_b64 s[10:11], s[0:1], s[14:15]
	s_mul_u64 s[10:11], s[10:11], 24
	s_wait_loadcnt 0x0
	v_add_nc_u64_e32 v[14:15], s[10:11], v[12:13]
	global_store_b64 v[14:15], v[18:19], off
	global_wb scope:SCOPE_SYS
	s_wait_storecnt 0x0
	s_wait_xcnt 0x0
	global_atomic_cmpswap_b64 v[12:13], v5, v[16:19], s[2:3] offset:24 th:TH_ATOMIC_RETURN scope:SCOPE_SYS
	s_wait_loadcnt 0x0
	v_cmp_ne_u64_e32 vcc_lo, v[12:13], v[18:19]
	s_and_b32 exec_lo, exec_lo, vcc_lo
	s_cbranch_execz .LBB5_32
; %bb.106:                              ;   in Loop: Header=BB5_33 Depth=1
	s_mov_b32 s10, 0
.LBB5_107:                              ;   Parent Loop BB5_33 Depth=1
                                        ; =>  This Inner Loop Header: Depth=2
	v_dual_mov_b32 v10, s0 :: v_dual_mov_b32 v11, s1
	s_sleep 1
	global_store_b64 v[14:15], v[12:13], off
	global_wb scope:SCOPE_SYS
	s_wait_storecnt 0x0
	s_wait_xcnt 0x0
	global_atomic_cmpswap_b64 v[10:11], v5, v[10:13], s[2:3] offset:24 th:TH_ATOMIC_RETURN scope:SCOPE_SYS
	s_wait_loadcnt 0x0
	v_cmp_eq_u64_e32 vcc_lo, v[10:11], v[12:13]
	v_mov_b64_e32 v[12:13], v[10:11]
	s_or_b32 s10, vcc_lo, s10
	s_delay_alu instid0(SALU_CYCLE_1)
	s_and_not1_b32 exec_lo, exec_lo, s10
	s_cbranch_execnz .LBB5_107
	s_branch .LBB5_32
.LBB5_108:
	s_branch .LBB5_136
.LBB5_109:
	s_cbranch_execz .LBB5_136
; %bb.110:
	v_readfirstlane_b32 s0, v32
	s_wait_loadcnt 0x0
	v_mov_b64_e32 v[10:11], 0
	s_delay_alu instid0(VALU_DEP_2)
	v_cmp_eq_u32_e64 s0, s0, v32
	s_and_saveexec_b32 s1, s0
	s_cbranch_execz .LBB5_116
; %bb.111:
	v_mov_b32_e32 v1, 0
	s_mov_b32 s4, exec_lo
	global_load_b64 v[6:7], v1, s[2:3] offset:24 scope:SCOPE_SYS
	s_wait_loadcnt 0x0
	global_inv scope:SCOPE_SYS
	s_clause 0x1
	global_load_b64 v[4:5], v1, s[2:3] offset:40
	global_load_b64 v[8:9], v1, s[2:3]
	s_wait_loadcnt 0x1
	v_and_b32_e32 v4, v4, v6
	v_and_b32_e32 v5, v5, v7
	s_delay_alu instid0(VALU_DEP_1) | instskip(SKIP_1) | instid1(VALU_DEP_1)
	v_mul_u64_e32 v[4:5], 24, v[4:5]
	s_wait_loadcnt 0x0
	v_add_nc_u64_e32 v[4:5], v[8:9], v[4:5]
	global_load_b64 v[4:5], v[4:5], off scope:SCOPE_SYS
	s_wait_xcnt 0x0
	s_wait_loadcnt 0x0
	global_atomic_cmpswap_b64 v[10:11], v1, v[4:7], s[2:3] offset:24 th:TH_ATOMIC_RETURN scope:SCOPE_SYS
	s_wait_loadcnt 0x0
	global_inv scope:SCOPE_SYS
	s_wait_xcnt 0x0
	v_cmpx_ne_u64_e64 v[10:11], v[6:7]
	s_cbranch_execz .LBB5_115
; %bb.112:
	s_mov_b32 s5, 0
.LBB5_113:                              ; =>This Inner Loop Header: Depth=1
	s_sleep 1
	s_clause 0x1
	global_load_b64 v[4:5], v1, s[2:3] offset:40
	global_load_b64 v[8:9], v1, s[2:3]
	v_mov_b64_e32 v[6:7], v[10:11]
	s_wait_loadcnt 0x1
	s_delay_alu instid0(VALU_DEP_1) | instskip(SKIP_1) | instid1(VALU_DEP_1)
	v_and_b32_e32 v4, v4, v6
	s_wait_loadcnt 0x0
	v_mad_nc_u64_u32 v[8:9], v4, 24, v[8:9]
	s_delay_alu instid0(VALU_DEP_3) | instskip(NEXT) | instid1(VALU_DEP_1)
	v_and_b32_e32 v4, v5, v7
	v_mad_u32 v9, v4, 24, v9
	global_load_b64 v[4:5], v[8:9], off scope:SCOPE_SYS
	s_wait_xcnt 0x0
	s_wait_loadcnt 0x0
	global_atomic_cmpswap_b64 v[10:11], v1, v[4:7], s[2:3] offset:24 th:TH_ATOMIC_RETURN scope:SCOPE_SYS
	s_wait_loadcnt 0x0
	global_inv scope:SCOPE_SYS
	v_cmp_eq_u64_e32 vcc_lo, v[10:11], v[6:7]
	s_or_b32 s5, vcc_lo, s5
	s_wait_xcnt 0x0
	s_and_not1_b32 exec_lo, exec_lo, s5
	s_cbranch_execnz .LBB5_113
; %bb.114:
	s_or_b32 exec_lo, exec_lo, s5
.LBB5_115:
	s_delay_alu instid0(SALU_CYCLE_1)
	s_or_b32 exec_lo, exec_lo, s4
.LBB5_116:
	s_delay_alu instid0(SALU_CYCLE_1)
	s_or_b32 exec_lo, exec_lo, s1
	v_readfirstlane_b32 s4, v10
	v_mov_b32_e32 v4, 0
	v_readfirstlane_b32 s5, v11
	s_mov_b32 s1, exec_lo
	s_clause 0x1
	global_load_b64 v[12:13], v4, s[2:3] offset:40
	global_load_b128 v[6:9], v4, s[2:3]
	s_wait_loadcnt 0x1
	v_and_b32_e32 v12, s4, v12
	v_and_b32_e32 v13, s5, v13
	s_delay_alu instid0(VALU_DEP_1) | instskip(SKIP_1) | instid1(VALU_DEP_1)
	v_mul_u64_e32 v[10:11], 24, v[12:13]
	s_wait_loadcnt 0x0
	v_add_nc_u64_e32 v[10:11], v[6:7], v[10:11]
	s_wait_xcnt 0x0
	s_and_saveexec_b32 s6, s0
	s_cbranch_execz .LBB5_118
; %bb.117:
	v_mov_b64_e32 v[16:17], 0x100000002
	v_dual_mov_b32 v14, s1 :: v_dual_mov_b32 v15, v4
	global_store_b128 v[10:11], v[14:17], off offset:8
.LBB5_118:
	s_wait_xcnt 0x0
	s_or_b32 exec_lo, exec_lo, s6
	v_lshlrev_b64_e32 v[12:13], 12, v[12:13]
	s_mov_b32 s8, 0
	v_and_or_b32 v2, 0xffffff1d, v2, 34
	s_mov_b32 s10, s8
	s_mov_b32 s11, s8
	;; [unrolled: 1-line block ×3, first 2 shown]
	v_mov_b32_e32 v5, v4
	v_add_nc_u64_e32 v[8:9], v[8:9], v[12:13]
	v_mov_b64_e32 v[14:15], s[10:11]
	v_mov_b64_e32 v[12:13], s[8:9]
	s_delay_alu instid0(VALU_DEP_3) | instskip(NEXT) | instid1(VALU_DEP_4)
	v_readfirstlane_b32 s6, v8
	v_readfirstlane_b32 s7, v9
	s_clause 0x3
	global_store_b128 v0, v[2:5], s[6:7]
	global_store_b128 v0, v[12:15], s[6:7] offset:16
	global_store_b128 v0, v[12:15], s[6:7] offset:32
	;; [unrolled: 1-line block ×3, first 2 shown]
	s_wait_xcnt 0x0
	s_and_saveexec_b32 s1, s0
	s_cbranch_execz .LBB5_126
; %bb.119:
	v_dual_mov_b32 v8, 0 :: v_dual_mov_b32 v13, s5
	s_mov_b32 s6, exec_lo
	s_clause 0x1
	global_load_b64 v[14:15], v8, s[2:3] offset:32 scope:SCOPE_SYS
	global_load_b64 v[0:1], v8, s[2:3] offset:40
	s_wait_loadcnt 0x0
	v_dual_mov_b32 v12, s4 :: v_dual_bitop2_b32 v1, s5, v1 bitop3:0x40
	v_and_b32_e32 v0, s4, v0
	s_delay_alu instid0(VALU_DEP_1) | instskip(NEXT) | instid1(VALU_DEP_1)
	v_mul_u64_e32 v[0:1], 24, v[0:1]
	v_add_nc_u64_e32 v[4:5], v[6:7], v[0:1]
	global_store_b64 v[4:5], v[14:15], off
	global_wb scope:SCOPE_SYS
	s_wait_storecnt 0x0
	s_wait_xcnt 0x0
	global_atomic_cmpswap_b64 v[2:3], v8, v[12:15], s[2:3] offset:32 th:TH_ATOMIC_RETURN scope:SCOPE_SYS
	s_wait_loadcnt 0x0
	v_cmpx_ne_u64_e64 v[2:3], v[14:15]
	s_cbranch_execz .LBB5_122
; %bb.120:
	s_mov_b32 s7, 0
.LBB5_121:                              ; =>This Inner Loop Header: Depth=1
	v_dual_mov_b32 v0, s4 :: v_dual_mov_b32 v1, s5
	s_sleep 1
	global_store_b64 v[4:5], v[2:3], off
	global_wb scope:SCOPE_SYS
	s_wait_storecnt 0x0
	s_wait_xcnt 0x0
	global_atomic_cmpswap_b64 v[0:1], v8, v[0:3], s[2:3] offset:32 th:TH_ATOMIC_RETURN scope:SCOPE_SYS
	s_wait_loadcnt 0x0
	v_cmp_eq_u64_e32 vcc_lo, v[0:1], v[2:3]
	v_mov_b64_e32 v[2:3], v[0:1]
	s_or_b32 s7, vcc_lo, s7
	s_delay_alu instid0(SALU_CYCLE_1)
	s_and_not1_b32 exec_lo, exec_lo, s7
	s_cbranch_execnz .LBB5_121
.LBB5_122:
	s_or_b32 exec_lo, exec_lo, s6
	v_mov_b32_e32 v3, 0
	s_mov_b32 s7, exec_lo
	s_mov_b32 s6, exec_lo
	v_mbcnt_lo_u32_b32 v2, s7, 0
	global_load_b64 v[0:1], v3, s[2:3] offset:16
	s_wait_xcnt 0x0
	v_cmpx_eq_u32_e32 0, v2
	s_cbranch_execz .LBB5_124
; %bb.123:
	s_bcnt1_i32_b32 s7, s7
	s_delay_alu instid0(SALU_CYCLE_1)
	v_mov_b32_e32 v2, s7
	global_wb scope:SCOPE_SYS
	s_wait_loadcnt 0x0
	s_wait_storecnt 0x0
	global_atomic_add_u64 v[0:1], v[2:3], off offset:8 scope:SCOPE_SYS
.LBB5_124:
	s_wait_xcnt 0x0
	s_or_b32 exec_lo, exec_lo, s6
	s_wait_loadcnt 0x0
	global_load_b64 v[2:3], v[0:1], off offset:16
	s_wait_loadcnt 0x0
	v_cmp_eq_u64_e32 vcc_lo, 0, v[2:3]
	s_cbranch_vccnz .LBB5_126
; %bb.125:
	global_load_b32 v0, v[0:1], off offset:24
	s_wait_xcnt 0x0
	v_mov_b32_e32 v1, 0
	s_wait_loadcnt 0x0
	v_readfirstlane_b32 s6, v0
	global_wb scope:SCOPE_SYS
	s_wait_storecnt 0x0
	global_store_b64 v[2:3], v[0:1], off scope:SCOPE_SYS
	s_and_b32 m0, s6, 0xffffff
	s_sendmsg sendmsg(MSG_INTERRUPT)
.LBB5_126:
	s_wait_xcnt 0x0
	s_or_b32 exec_lo, exec_lo, s1
	s_branch .LBB5_130
.LBB5_127:                              ;   in Loop: Header=BB5_130 Depth=1
	s_wait_xcnt 0x0
	s_or_b32 exec_lo, exec_lo, s1
	s_delay_alu instid0(VALU_DEP_1)
	v_readfirstlane_b32 s1, v0
	s_cmp_eq_u32 s1, 0
	s_cbranch_scc1 .LBB5_129
; %bb.128:                              ;   in Loop: Header=BB5_130 Depth=1
	s_sleep 1
	s_cbranch_execnz .LBB5_130
	s_branch .LBB5_132
.LBB5_129:
	s_branch .LBB5_132
.LBB5_130:                              ; =>This Inner Loop Header: Depth=1
	v_mov_b32_e32 v0, 1
	s_and_saveexec_b32 s1, s0
	s_cbranch_execz .LBB5_127
; %bb.131:                              ;   in Loop: Header=BB5_130 Depth=1
	global_load_b32 v0, v[10:11], off offset:20 scope:SCOPE_SYS
	s_wait_loadcnt 0x0
	global_inv scope:SCOPE_SYS
	v_and_b32_e32 v0, 1, v0
	s_branch .LBB5_127
.LBB5_132:
	s_and_saveexec_b32 s1, s0
	s_cbranch_execz .LBB5_136
; %bb.133:
	v_mov_b32_e32 v6, 0
	s_clause 0x2
	global_load_b64 v[0:1], v6, s[2:3] offset:40
	global_load_b64 v[10:11], v6, s[2:3] offset:24 scope:SCOPE_SYS
	global_load_b64 v[2:3], v6, s[2:3]
	s_wait_loadcnt 0x2
	v_readfirstlane_b32 s6, v0
	v_readfirstlane_b32 s7, v1
	s_add_nc_u64 s[0:1], s[6:7], 1
	s_delay_alu instid0(SALU_CYCLE_1) | instskip(NEXT) | instid1(SALU_CYCLE_1)
	s_add_nc_u64 s[4:5], s[0:1], s[4:5]
	s_cmp_eq_u64 s[4:5], 0
	s_cselect_b32 s1, s1, s5
	s_cselect_b32 s0, s0, s4
	v_mov_b32_e32 v9, s1
	s_and_b64 s[4:5], s[0:1], s[6:7]
	v_mov_b32_e32 v8, s0
	s_mul_u64 s[4:5], s[4:5], 24
	s_wait_loadcnt 0x0
	v_add_nc_u64_e32 v[4:5], s[4:5], v[2:3]
	global_store_b64 v[4:5], v[10:11], off
	global_wb scope:SCOPE_SYS
	s_wait_storecnt 0x0
	s_wait_xcnt 0x0
	global_atomic_cmpswap_b64 v[2:3], v6, v[8:11], s[2:3] offset:24 th:TH_ATOMIC_RETURN scope:SCOPE_SYS
	s_wait_loadcnt 0x0
	v_cmp_ne_u64_e32 vcc_lo, v[2:3], v[10:11]
	s_and_b32 exec_lo, exec_lo, vcc_lo
	s_cbranch_execz .LBB5_136
; %bb.134:
	s_mov_b32 s4, 0
.LBB5_135:                              ; =>This Inner Loop Header: Depth=1
	v_dual_mov_b32 v0, s0 :: v_dual_mov_b32 v1, s1
	s_sleep 1
	global_store_b64 v[4:5], v[2:3], off
	global_wb scope:SCOPE_SYS
	s_wait_storecnt 0x0
	s_wait_xcnt 0x0
	global_atomic_cmpswap_b64 v[0:1], v6, v[0:3], s[2:3] offset:24 th:TH_ATOMIC_RETURN scope:SCOPE_SYS
	s_wait_loadcnt 0x0
	v_cmp_eq_u64_e32 vcc_lo, v[0:1], v[2:3]
	v_mov_b64_e32 v[2:3], v[0:1]
	s_or_b32 s4, vcc_lo, s4
	s_delay_alu instid0(SALU_CYCLE_1)
	s_and_not1_b32 exec_lo, exec_lo, s4
	s_cbranch_execnz .LBB5_135
.LBB5_136:
	s_endpgm
	.section	.rodata,"a",@progbits
	.p2align	6, 0x0
	.amdhsa_kernel _ZN2at6native30tinygemm_m16n8k16_chunk_kernelINS0_10ALayout_RMILNS0_14KReductionTypeE0EEENS0_15BLayout_TC_int4ILi8ELi64EEES4_Li8ELi8EEEvPKvS8_S8_Pviiiiii
		.amdhsa_group_segment_fixed_size 0
		.amdhsa_private_segment_fixed_size 0
		.amdhsa_kernarg_size 312
		.amdhsa_user_sgpr_count 2
		.amdhsa_user_sgpr_dispatch_ptr 0
		.amdhsa_user_sgpr_queue_ptr 0
		.amdhsa_user_sgpr_kernarg_segment_ptr 1
		.amdhsa_user_sgpr_dispatch_id 0
		.amdhsa_user_sgpr_kernarg_preload_length 0
		.amdhsa_user_sgpr_kernarg_preload_offset 0
		.amdhsa_user_sgpr_private_segment_size 0
		.amdhsa_wavefront_size32 1
		.amdhsa_uses_dynamic_stack 0
		.amdhsa_enable_private_segment 0
		.amdhsa_system_sgpr_workgroup_id_x 1
		.amdhsa_system_sgpr_workgroup_id_y 0
		.amdhsa_system_sgpr_workgroup_id_z 0
		.amdhsa_system_sgpr_workgroup_info 0
		.amdhsa_system_vgpr_workitem_id 0
		.amdhsa_next_free_vgpr 33
		.amdhsa_next_free_sgpr 18
		.amdhsa_named_barrier_count 0
		.amdhsa_reserve_vcc 1
		.amdhsa_float_round_mode_32 0
		.amdhsa_float_round_mode_16_64 0
		.amdhsa_float_denorm_mode_32 3
		.amdhsa_float_denorm_mode_16_64 3
		.amdhsa_fp16_overflow 0
		.amdhsa_memory_ordered 1
		.amdhsa_forward_progress 1
		.amdhsa_inst_pref_size 43
		.amdhsa_round_robin_scheduling 0
		.amdhsa_exception_fp_ieee_invalid_op 0
		.amdhsa_exception_fp_denorm_src 0
		.amdhsa_exception_fp_ieee_div_zero 0
		.amdhsa_exception_fp_ieee_overflow 0
		.amdhsa_exception_fp_ieee_underflow 0
		.amdhsa_exception_fp_ieee_inexact 0
		.amdhsa_exception_int_div_zero 0
	.end_amdhsa_kernel
	.section	.text._ZN2at6native30tinygemm_m16n8k16_chunk_kernelINS0_10ALayout_RMILNS0_14KReductionTypeE0EEENS0_15BLayout_TC_int4ILi8ELi64EEES4_Li8ELi8EEEvPKvS8_S8_Pviiiiii,"axG",@progbits,_ZN2at6native30tinygemm_m16n8k16_chunk_kernelINS0_10ALayout_RMILNS0_14KReductionTypeE0EEENS0_15BLayout_TC_int4ILi8ELi64EEES4_Li8ELi8EEEvPKvS8_S8_Pviiiiii,comdat
.Lfunc_end5:
	.size	_ZN2at6native30tinygemm_m16n8k16_chunk_kernelINS0_10ALayout_RMILNS0_14KReductionTypeE0EEENS0_15BLayout_TC_int4ILi8ELi64EEES4_Li8ELi8EEEvPKvS8_S8_Pviiiiii, .Lfunc_end5-_ZN2at6native30tinygemm_m16n8k16_chunk_kernelINS0_10ALayout_RMILNS0_14KReductionTypeE0EEENS0_15BLayout_TC_int4ILi8ELi64EEES4_Li8ELi8EEEvPKvS8_S8_Pviiiiii
                                        ; -- End function
	.set _ZN2at6native30tinygemm_m16n8k16_chunk_kernelINS0_10ALayout_RMILNS0_14KReductionTypeE0EEENS0_15BLayout_TC_int4ILi8ELi64EEES4_Li8ELi8EEEvPKvS8_S8_Pviiiiii.num_vgpr, 33
	.set _ZN2at6native30tinygemm_m16n8k16_chunk_kernelINS0_10ALayout_RMILNS0_14KReductionTypeE0EEENS0_15BLayout_TC_int4ILi8ELi64EEES4_Li8ELi8EEEvPKvS8_S8_Pviiiiii.num_agpr, 0
	.set _ZN2at6native30tinygemm_m16n8k16_chunk_kernelINS0_10ALayout_RMILNS0_14KReductionTypeE0EEENS0_15BLayout_TC_int4ILi8ELi64EEES4_Li8ELi8EEEvPKvS8_S8_Pviiiiii.numbered_sgpr, 18
	.set _ZN2at6native30tinygemm_m16n8k16_chunk_kernelINS0_10ALayout_RMILNS0_14KReductionTypeE0EEENS0_15BLayout_TC_int4ILi8ELi64EEES4_Li8ELi8EEEvPKvS8_S8_Pviiiiii.num_named_barrier, 0
	.set _ZN2at6native30tinygemm_m16n8k16_chunk_kernelINS0_10ALayout_RMILNS0_14KReductionTypeE0EEENS0_15BLayout_TC_int4ILi8ELi64EEES4_Li8ELi8EEEvPKvS8_S8_Pviiiiii.private_seg_size, 0
	.set _ZN2at6native30tinygemm_m16n8k16_chunk_kernelINS0_10ALayout_RMILNS0_14KReductionTypeE0EEENS0_15BLayout_TC_int4ILi8ELi64EEES4_Li8ELi8EEEvPKvS8_S8_Pviiiiii.uses_vcc, 1
	.set _ZN2at6native30tinygemm_m16n8k16_chunk_kernelINS0_10ALayout_RMILNS0_14KReductionTypeE0EEENS0_15BLayout_TC_int4ILi8ELi64EEES4_Li8ELi8EEEvPKvS8_S8_Pviiiiii.uses_flat_scratch, 0
	.set _ZN2at6native30tinygemm_m16n8k16_chunk_kernelINS0_10ALayout_RMILNS0_14KReductionTypeE0EEENS0_15BLayout_TC_int4ILi8ELi64EEES4_Li8ELi8EEEvPKvS8_S8_Pviiiiii.has_dyn_sized_stack, 0
	.set _ZN2at6native30tinygemm_m16n8k16_chunk_kernelINS0_10ALayout_RMILNS0_14KReductionTypeE0EEENS0_15BLayout_TC_int4ILi8ELi64EEES4_Li8ELi8EEEvPKvS8_S8_Pviiiiii.has_recursion, 0
	.set _ZN2at6native30tinygemm_m16n8k16_chunk_kernelINS0_10ALayout_RMILNS0_14KReductionTypeE0EEENS0_15BLayout_TC_int4ILi8ELi64EEES4_Li8ELi8EEEvPKvS8_S8_Pviiiiii.has_indirect_call, 0
	.section	.AMDGPU.csdata,"",@progbits
; Kernel info:
; codeLenInByte = 5440
; TotalNumSgprs: 20
; NumVgprs: 33
; ScratchSize: 0
; MemoryBound: 0
; FloatMode: 240
; IeeeMode: 1
; LDSByteSize: 0 bytes/workgroup (compile time only)
; SGPRBlocks: 0
; VGPRBlocks: 2
; NumSGPRsForWavesPerEU: 20
; NumVGPRsForWavesPerEU: 33
; NamedBarCnt: 0
; Occupancy: 16
; WaveLimiterHint : 1
; COMPUTE_PGM_RSRC2:SCRATCH_EN: 0
; COMPUTE_PGM_RSRC2:USER_SGPR: 2
; COMPUTE_PGM_RSRC2:TRAP_HANDLER: 0
; COMPUTE_PGM_RSRC2:TGID_X_EN: 1
; COMPUTE_PGM_RSRC2:TGID_Y_EN: 0
; COMPUTE_PGM_RSRC2:TGID_Z_EN: 0
; COMPUTE_PGM_RSRC2:TIDIG_COMP_CNT: 0
	.section	.text._ZN2at6native30tinygemm_m16n8k16_chunk_kernelINS0_10ALayout_RMILNS0_14KReductionTypeE0EEENS0_15BLayout_TC_int4ILi2ELi128EEES4_Li8ELi8EEEvPKvS8_S8_Pviiiiii,"axG",@progbits,_ZN2at6native30tinygemm_m16n8k16_chunk_kernelINS0_10ALayout_RMILNS0_14KReductionTypeE0EEENS0_15BLayout_TC_int4ILi2ELi128EEES4_Li8ELi8EEEvPKvS8_S8_Pviiiiii,comdat
	.protected	_ZN2at6native30tinygemm_m16n8k16_chunk_kernelINS0_10ALayout_RMILNS0_14KReductionTypeE0EEENS0_15BLayout_TC_int4ILi2ELi128EEES4_Li8ELi8EEEvPKvS8_S8_Pviiiiii ; -- Begin function _ZN2at6native30tinygemm_m16n8k16_chunk_kernelINS0_10ALayout_RMILNS0_14KReductionTypeE0EEENS0_15BLayout_TC_int4ILi2ELi128EEES4_Li8ELi8EEEvPKvS8_S8_Pviiiiii
	.globl	_ZN2at6native30tinygemm_m16n8k16_chunk_kernelINS0_10ALayout_RMILNS0_14KReductionTypeE0EEENS0_15BLayout_TC_int4ILi2ELi128EEES4_Li8ELi8EEEvPKvS8_S8_Pviiiiii
	.p2align	8
	.type	_ZN2at6native30tinygemm_m16n8k16_chunk_kernelINS0_10ALayout_RMILNS0_14KReductionTypeE0EEENS0_15BLayout_TC_int4ILi2ELi128EEES4_Li8ELi8EEEvPKvS8_S8_Pviiiiii,@function
_ZN2at6native30tinygemm_m16n8k16_chunk_kernelINS0_10ALayout_RMILNS0_14KReductionTypeE0EEENS0_15BLayout_TC_int4ILi2ELi128EEES4_Li8ELi8EEEvPKvS8_S8_Pviiiiii: ; @_ZN2at6native30tinygemm_m16n8k16_chunk_kernelINS0_10ALayout_RMILNS0_14KReductionTypeE0EEENS0_15BLayout_TC_int4ILi2ELi128EEES4_Li8ELi8EEEvPKvS8_S8_Pviiiiii
; %bb.0:
	s_load_b64 s[2:3], s[0:1], 0x88
	v_mbcnt_lo_u32_b32 v32, -1, 0
	v_mov_b64_e32 v[2:3], 0
	s_wait_xcnt 0x0
	s_delay_alu instid0(VALU_DEP_2) | instskip(NEXT) | instid1(VALU_DEP_1)
	v_readfirstlane_b32 s0, v32
	v_cmp_eq_u32_e64 s0, s0, v32
	s_and_saveexec_b32 s1, s0
	s_cbranch_execz .LBB6_6
; %bb.1:
	v_mov_b32_e32 v0, 0
	s_mov_b32 s4, exec_lo
	s_wait_kmcnt 0x0
	global_load_b64 v[4:5], v0, s[2:3] offset:24 scope:SCOPE_SYS
	s_wait_loadcnt 0x0
	global_inv scope:SCOPE_SYS
	s_clause 0x1
	global_load_b64 v[2:3], v0, s[2:3] offset:40
	global_load_b64 v[6:7], v0, s[2:3]
	s_wait_loadcnt 0x1
	v_and_b32_e32 v2, v2, v4
	v_and_b32_e32 v3, v3, v5
	s_delay_alu instid0(VALU_DEP_1) | instskip(SKIP_1) | instid1(VALU_DEP_1)
	v_mul_u64_e32 v[2:3], 24, v[2:3]
	s_wait_loadcnt 0x0
	v_add_nc_u64_e32 v[2:3], v[6:7], v[2:3]
	global_load_b64 v[2:3], v[2:3], off scope:SCOPE_SYS
	s_wait_xcnt 0x0
	s_wait_loadcnt 0x0
	global_atomic_cmpswap_b64 v[2:3], v0, v[2:5], s[2:3] offset:24 th:TH_ATOMIC_RETURN scope:SCOPE_SYS
	s_wait_loadcnt 0x0
	global_inv scope:SCOPE_SYS
	s_wait_xcnt 0x0
	v_cmpx_ne_u64_e64 v[2:3], v[4:5]
	s_cbranch_execz .LBB6_5
; %bb.2:
	s_mov_b32 s5, 0
.LBB6_3:                                ; =>This Inner Loop Header: Depth=1
	s_sleep 1
	s_clause 0x1
	global_load_b64 v[6:7], v0, s[2:3] offset:40
	global_load_b64 v[8:9], v0, s[2:3]
	v_mov_b64_e32 v[4:5], v[2:3]
	s_wait_loadcnt 0x1
	s_delay_alu instid0(VALU_DEP_1) | instskip(SKIP_1) | instid1(VALU_DEP_1)
	v_and_b32_e32 v1, v6, v4
	s_wait_loadcnt 0x0
	v_mad_nc_u64_u32 v[2:3], v1, 24, v[8:9]
	s_delay_alu instid0(VALU_DEP_3) | instskip(NEXT) | instid1(VALU_DEP_1)
	v_and_b32_e32 v1, v7, v5
	v_mad_u32 v3, v1, 24, v3
	global_load_b64 v[2:3], v[2:3], off scope:SCOPE_SYS
	s_wait_xcnt 0x0
	s_wait_loadcnt 0x0
	global_atomic_cmpswap_b64 v[2:3], v0, v[2:5], s[2:3] offset:24 th:TH_ATOMIC_RETURN scope:SCOPE_SYS
	s_wait_loadcnt 0x0
	global_inv scope:SCOPE_SYS
	v_cmp_eq_u64_e32 vcc_lo, v[2:3], v[4:5]
	s_or_b32 s5, vcc_lo, s5
	s_wait_xcnt 0x0
	s_and_not1_b32 exec_lo, exec_lo, s5
	s_cbranch_execnz .LBB6_3
; %bb.4:
	s_or_b32 exec_lo, exec_lo, s5
.LBB6_5:
	s_delay_alu instid0(SALU_CYCLE_1)
	s_or_b32 exec_lo, exec_lo, s4
.LBB6_6:
	s_delay_alu instid0(SALU_CYCLE_1)
	s_or_b32 exec_lo, exec_lo, s1
	v_readfirstlane_b32 s4, v2
	v_mov_b32_e32 v1, 0
	v_readfirstlane_b32 s5, v3
	s_mov_b32 s1, exec_lo
	s_wait_kmcnt 0x0
	s_clause 0x1
	global_load_b64 v[8:9], v1, s[2:3] offset:40
	global_load_b128 v[4:7], v1, s[2:3]
	s_wait_loadcnt 0x1
	v_and_b32_e32 v10, s4, v8
	v_and_b32_e32 v11, s5, v9
	s_delay_alu instid0(VALU_DEP_1) | instskip(SKIP_1) | instid1(VALU_DEP_1)
	v_mul_u64_e32 v[2:3], 24, v[10:11]
	s_wait_loadcnt 0x0
	v_add_nc_u64_e32 v[8:9], v[4:5], v[2:3]
	s_and_saveexec_b32 s6, s0
	s_cbranch_execz .LBB6_8
; %bb.7:
	v_mov_b64_e32 v[2:3], 0x100000002
	v_mov_b32_e32 v0, s1
	global_store_b128 v[8:9], v[0:3], off offset:8
.LBB6_8:
	s_wait_xcnt 0x0
	s_or_b32 exec_lo, exec_lo, s6
	v_lshlrev_b64_e32 v[2:3], 12, v[10:11]
	s_mov_b32 s8, 0
	v_dual_lshlrev_b32 v0, 6, v32 :: v_dual_mov_b32 v10, 33
	s_mov_b32 s10, s8
	s_mov_b32 s11, s8
	;; [unrolled: 1-line block ×3, first 2 shown]
	s_delay_alu instid0(VALU_DEP_2)
	v_add_nc_u64_e32 v[6:7], v[6:7], v[2:3]
	v_mov_b64_e32 v[16:17], s[10:11]
	v_mov_b64_e32 v[14:15], s[8:9]
	v_dual_mov_b32 v11, v1 :: v_dual_mov_b32 v12, v1
	v_mov_b32_e32 v13, v1
	v_readfirstlane_b32 s6, v6
	v_readfirstlane_b32 s7, v7
	s_clause 0x3
	global_store_b128 v0, v[10:13], s[6:7]
	global_store_b128 v0, v[14:17], s[6:7] offset:16
	global_store_b128 v0, v[14:17], s[6:7] offset:32
	;; [unrolled: 1-line block ×3, first 2 shown]
	s_wait_xcnt 0x0
	s_and_saveexec_b32 s1, s0
	s_cbranch_execz .LBB6_16
; %bb.9:
	v_dual_mov_b32 v12, 0 :: v_dual_mov_b32 v15, s5
	s_mov_b32 s6, exec_lo
	s_clause 0x1
	global_load_b64 v[16:17], v12, s[2:3] offset:32 scope:SCOPE_SYS
	global_load_b64 v[2:3], v12, s[2:3] offset:40
	s_wait_loadcnt 0x0
	v_dual_mov_b32 v14, s4 :: v_dual_bitop2_b32 v3, s5, v3 bitop3:0x40
	v_and_b32_e32 v2, s4, v2
	s_delay_alu instid0(VALU_DEP_1) | instskip(NEXT) | instid1(VALU_DEP_1)
	v_mul_u64_e32 v[2:3], 24, v[2:3]
	v_add_nc_u64_e32 v[10:11], v[4:5], v[2:3]
	global_store_b64 v[10:11], v[16:17], off
	global_wb scope:SCOPE_SYS
	s_wait_storecnt 0x0
	s_wait_xcnt 0x0
	global_atomic_cmpswap_b64 v[4:5], v12, v[14:17], s[2:3] offset:32 th:TH_ATOMIC_RETURN scope:SCOPE_SYS
	s_wait_loadcnt 0x0
	v_cmpx_ne_u64_e64 v[4:5], v[16:17]
	s_cbranch_execz .LBB6_12
; %bb.10:
	s_mov_b32 s7, 0
.LBB6_11:                               ; =>This Inner Loop Header: Depth=1
	v_dual_mov_b32 v2, s4 :: v_dual_mov_b32 v3, s5
	s_sleep 1
	global_store_b64 v[10:11], v[4:5], off
	global_wb scope:SCOPE_SYS
	s_wait_storecnt 0x0
	s_wait_xcnt 0x0
	global_atomic_cmpswap_b64 v[2:3], v12, v[2:5], s[2:3] offset:32 th:TH_ATOMIC_RETURN scope:SCOPE_SYS
	s_wait_loadcnt 0x0
	v_cmp_eq_u64_e32 vcc_lo, v[2:3], v[4:5]
	v_mov_b64_e32 v[4:5], v[2:3]
	s_or_b32 s7, vcc_lo, s7
	s_delay_alu instid0(SALU_CYCLE_1)
	s_and_not1_b32 exec_lo, exec_lo, s7
	s_cbranch_execnz .LBB6_11
.LBB6_12:
	s_or_b32 exec_lo, exec_lo, s6
	v_mov_b32_e32 v5, 0
	s_mov_b32 s7, exec_lo
	s_mov_b32 s6, exec_lo
	v_mbcnt_lo_u32_b32 v4, s7, 0
	global_load_b64 v[2:3], v5, s[2:3] offset:16
	s_wait_xcnt 0x0
	v_cmpx_eq_u32_e32 0, v4
	s_cbranch_execz .LBB6_14
; %bb.13:
	s_bcnt1_i32_b32 s7, s7
	s_delay_alu instid0(SALU_CYCLE_1)
	v_mov_b32_e32 v4, s7
	global_wb scope:SCOPE_SYS
	s_wait_loadcnt 0x0
	s_wait_storecnt 0x0
	global_atomic_add_u64 v[2:3], v[4:5], off offset:8 scope:SCOPE_SYS
.LBB6_14:
	s_wait_xcnt 0x0
	s_or_b32 exec_lo, exec_lo, s6
	s_wait_loadcnt 0x0
	global_load_b64 v[4:5], v[2:3], off offset:16
	s_wait_loadcnt 0x0
	v_cmp_eq_u64_e32 vcc_lo, 0, v[4:5]
	s_cbranch_vccnz .LBB6_16
; %bb.15:
	global_load_b32 v2, v[2:3], off offset:24
	s_wait_xcnt 0x0
	v_mov_b32_e32 v3, 0
	s_wait_loadcnt 0x0
	v_readfirstlane_b32 s6, v2
	global_wb scope:SCOPE_SYS
	s_wait_storecnt 0x0
	global_store_b64 v[4:5], v[2:3], off scope:SCOPE_SYS
	s_and_b32 m0, s6, 0xffffff
	s_sendmsg sendmsg(MSG_INTERRUPT)
.LBB6_16:
	s_wait_xcnt 0x0
	s_or_b32 exec_lo, exec_lo, s1
	v_add_nc_u64_e32 v[2:3], v[6:7], v[0:1]
	s_branch .LBB6_20
.LBB6_17:                               ;   in Loop: Header=BB6_20 Depth=1
	s_wait_xcnt 0x0
	s_or_b32 exec_lo, exec_lo, s1
	s_delay_alu instid0(VALU_DEP_1)
	v_readfirstlane_b32 s1, v1
	s_cmp_eq_u32 s1, 0
	s_cbranch_scc1 .LBB6_19
; %bb.18:                               ;   in Loop: Header=BB6_20 Depth=1
	s_sleep 1
	s_cbranch_execnz .LBB6_20
	s_branch .LBB6_22
.LBB6_19:
	s_branch .LBB6_22
.LBB6_20:                               ; =>This Inner Loop Header: Depth=1
	v_mov_b32_e32 v1, 1
	s_and_saveexec_b32 s1, s0
	s_cbranch_execz .LBB6_17
; %bb.21:                               ;   in Loop: Header=BB6_20 Depth=1
	global_load_b32 v1, v[8:9], off offset:20 scope:SCOPE_SYS
	s_wait_loadcnt 0x0
	global_inv scope:SCOPE_SYS
	v_and_b32_e32 v1, 1, v1
	s_branch .LBB6_17
.LBB6_22:
	global_load_b64 v[2:3], v[2:3], off
	s_wait_xcnt 0x0
	s_and_saveexec_b32 s6, s0
	s_cbranch_execz .LBB6_26
; %bb.23:
	v_mov_b32_e32 v1, 0
	s_clause 0x2
	global_load_b64 v[4:5], v1, s[2:3] offset:40
	global_load_b64 v[12:13], v1, s[2:3] offset:24 scope:SCOPE_SYS
	global_load_b64 v[6:7], v1, s[2:3]
	s_wait_loadcnt 0x2
	v_readfirstlane_b32 s8, v4
	v_readfirstlane_b32 s9, v5
	s_add_nc_u64 s[0:1], s[8:9], 1
	s_delay_alu instid0(SALU_CYCLE_1) | instskip(NEXT) | instid1(SALU_CYCLE_1)
	s_add_nc_u64 s[4:5], s[0:1], s[4:5]
	s_cmp_eq_u64 s[4:5], 0
	s_cselect_b32 s1, s1, s5
	s_cselect_b32 s0, s0, s4
	v_mov_b32_e32 v11, s1
	s_and_b64 s[4:5], s[0:1], s[8:9]
	v_mov_b32_e32 v10, s0
	s_mul_u64 s[4:5], s[4:5], 24
	s_wait_loadcnt 0x0
	v_add_nc_u64_e32 v[8:9], s[4:5], v[6:7]
	global_store_b64 v[8:9], v[12:13], off
	global_wb scope:SCOPE_SYS
	s_wait_storecnt 0x0
	s_wait_xcnt 0x0
	global_atomic_cmpswap_b64 v[6:7], v1, v[10:13], s[2:3] offset:24 th:TH_ATOMIC_RETURN scope:SCOPE_SYS
	s_wait_loadcnt 0x0
	v_cmp_ne_u64_e32 vcc_lo, v[6:7], v[12:13]
	s_and_b32 exec_lo, exec_lo, vcc_lo
	s_cbranch_execz .LBB6_26
; %bb.24:
	s_mov_b32 s4, 0
.LBB6_25:                               ; =>This Inner Loop Header: Depth=1
	v_dual_mov_b32 v4, s0 :: v_dual_mov_b32 v5, s1
	s_sleep 1
	global_store_b64 v[8:9], v[6:7], off
	global_wb scope:SCOPE_SYS
	s_wait_storecnt 0x0
	s_wait_xcnt 0x0
	global_atomic_cmpswap_b64 v[4:5], v1, v[4:7], s[2:3] offset:24 th:TH_ATOMIC_RETURN scope:SCOPE_SYS
	s_wait_loadcnt 0x0
	v_cmp_eq_u64_e32 vcc_lo, v[4:5], v[6:7]
	v_mov_b64_e32 v[6:7], v[4:5]
	s_or_b32 s4, vcc_lo, s4
	s_delay_alu instid0(SALU_CYCLE_1)
	s_and_not1_b32 exec_lo, exec_lo, s4
	s_cbranch_execnz .LBB6_25
.LBB6_26:
	s_or_b32 exec_lo, exec_lo, s6
	s_get_pc_i64 s[4:5]
	s_add_nc_u64 s[4:5], s[4:5], .str@rel64+4
	s_mov_b64 s[6:7], 0
	s_cmp_lg_u64 s[4:5], 0
	s_cselect_b32 s8, -1, 0
	s_cmp_eq_u64 s[4:5], 0
	s_cbranch_scc1 .LBB6_30
; %bb.27:
	s_get_pc_i64 s[0:1]
	s_add_nc_u64 s[0:1], s[0:1], .str@rel64+3
.LBB6_28:                               ; =>This Inner Loop Header: Depth=1
	s_load_u8 s6, s[0:1], 0x1
	s_wait_xcnt 0x0
	s_add_nc_u64 s[0:1], s[0:1], 1
	s_wait_kmcnt 0x0
	s_cmp_lg_u32 s6, 0
	s_cbranch_scc1 .LBB6_28
; %bb.29:
	s_get_pc_i64 s[6:7]
	s_add_nc_u64 s[6:7], s[6:7], .str@rel64+4
	s_delay_alu instid0(SALU_CYCLE_1) | instskip(NEXT) | instid1(SALU_CYCLE_1)
	s_sub_nc_u64 s[0:1], s[0:1], s[6:7]
	s_add_nc_u64 s[6:7], s[0:1], 1
.LBB6_30:
	s_and_b32 vcc_lo, exec_lo, s8
	s_cbranch_vccz .LBB6_109
; %bb.31:
	v_mov_b64_e32 v[6:7], 0x100000002
	s_wait_loadcnt 0x0
	v_dual_mov_b32 v9, v3 :: v_dual_bitop2_b32 v8, -3, v2 bitop3:0x40
	v_mov_b32_e32 v5, 0
	s_branch .LBB6_33
.LBB6_32:                               ;   in Loop: Header=BB6_33 Depth=1
	s_or_b32 exec_lo, exec_lo, s12
	s_sub_nc_u64 s[6:7], s[6:7], s[8:9]
	s_add_nc_u64 s[4:5], s[4:5], s[8:9]
	s_cmp_lg_u64 s[6:7], 0
	s_cbranch_scc0 .LBB6_108
.LBB6_33:                               ; =>This Loop Header: Depth=1
                                        ;     Child Loop BB6_36 Depth 2
                                        ;     Child Loop BB6_43 Depth 2
	;; [unrolled: 1-line block ×11, first 2 shown]
	s_wait_loadcnt 0x0
	v_min_u64 v[10:11], s[6:7], 56
	v_cmp_gt_u64_e64 s0, s[6:7], 7
	s_and_b32 vcc_lo, exec_lo, s0
	v_readfirstlane_b32 s8, v10
	v_readfirstlane_b32 s9, v11
	s_cbranch_vccnz .LBB6_38
; %bb.34:                               ;   in Loop: Header=BB6_33 Depth=1
	v_mov_b64_e32 v[10:11], 0
	s_cmp_eq_u64 s[6:7], 0
	s_cbranch_scc1 .LBB6_37
; %bb.35:                               ;   in Loop: Header=BB6_33 Depth=1
	s_mov_b64 s[0:1], 0
	s_mov_b64 s[10:11], 0
.LBB6_36:                               ;   Parent Loop BB6_33 Depth=1
                                        ; =>  This Inner Loop Header: Depth=2
	s_wait_xcnt 0x0
	s_add_nc_u64 s[12:13], s[4:5], s[10:11]
	s_add_nc_u64 s[10:11], s[10:11], 1
	global_load_u8 v1, v5, s[12:13]
	s_cmp_lg_u32 s8, s10
	s_wait_loadcnt 0x0
	v_and_b32_e32 v4, 0xffff, v1
	s_delay_alu instid0(VALU_DEP_1) | instskip(SKIP_1) | instid1(VALU_DEP_1)
	v_lshlrev_b64_e32 v[12:13], s0, v[4:5]
	s_add_nc_u64 s[0:1], s[0:1], 8
	v_or_b32_e32 v10, v12, v10
	s_delay_alu instid0(VALU_DEP_2)
	v_or_b32_e32 v11, v13, v11
	s_cbranch_scc1 .LBB6_36
.LBB6_37:                               ;   in Loop: Header=BB6_33 Depth=1
	s_mov_b64 s[10:11], s[4:5]
	s_mov_b32 s14, 0
	s_cbranch_execz .LBB6_39
	s_branch .LBB6_40
.LBB6_38:                               ;   in Loop: Header=BB6_33 Depth=1
	s_add_nc_u64 s[10:11], s[4:5], 8
	s_mov_b32 s14, 0
.LBB6_39:                               ;   in Loop: Header=BB6_33 Depth=1
	global_load_b64 v[10:11], v5, s[4:5]
	s_add_co_i32 s14, s8, -8
.LBB6_40:                               ;   in Loop: Header=BB6_33 Depth=1
	s_delay_alu instid0(SALU_CYCLE_1)
	s_cmp_gt_u32 s14, 7
	s_cbranch_scc1 .LBB6_45
; %bb.41:                               ;   in Loop: Header=BB6_33 Depth=1
	v_mov_b64_e32 v[12:13], 0
	s_cmp_eq_u32 s14, 0
	s_cbranch_scc1 .LBB6_44
; %bb.42:                               ;   in Loop: Header=BB6_33 Depth=1
	s_mov_b64 s[0:1], 0
	s_wait_xcnt 0x0
	s_mov_b64 s[12:13], 0
.LBB6_43:                               ;   Parent Loop BB6_33 Depth=1
                                        ; =>  This Inner Loop Header: Depth=2
	s_wait_xcnt 0x0
	s_add_nc_u64 s[16:17], s[10:11], s[12:13]
	s_add_nc_u64 s[12:13], s[12:13], 1
	global_load_u8 v1, v5, s[16:17]
	s_cmp_lg_u32 s14, s12
	s_wait_loadcnt 0x0
	v_and_b32_e32 v4, 0xffff, v1
	s_delay_alu instid0(VALU_DEP_1) | instskip(SKIP_1) | instid1(VALU_DEP_1)
	v_lshlrev_b64_e32 v[14:15], s0, v[4:5]
	s_add_nc_u64 s[0:1], s[0:1], 8
	v_or_b32_e32 v12, v14, v12
	s_delay_alu instid0(VALU_DEP_2)
	v_or_b32_e32 v13, v15, v13
	s_cbranch_scc1 .LBB6_43
.LBB6_44:                               ;   in Loop: Header=BB6_33 Depth=1
	s_wait_xcnt 0x0
	s_mov_b64 s[0:1], s[10:11]
	s_mov_b32 s15, 0
	s_cbranch_execz .LBB6_46
	s_branch .LBB6_47
.LBB6_45:                               ;   in Loop: Header=BB6_33 Depth=1
	s_add_nc_u64 s[0:1], s[10:11], 8
	s_wait_xcnt 0x0
                                        ; implicit-def: $vgpr12_vgpr13
	s_mov_b32 s15, 0
.LBB6_46:                               ;   in Loop: Header=BB6_33 Depth=1
	global_load_b64 v[12:13], v5, s[10:11]
	s_add_co_i32 s15, s14, -8
.LBB6_47:                               ;   in Loop: Header=BB6_33 Depth=1
	s_delay_alu instid0(SALU_CYCLE_1)
	s_cmp_gt_u32 s15, 7
	s_cbranch_scc1 .LBB6_52
; %bb.48:                               ;   in Loop: Header=BB6_33 Depth=1
	v_mov_b64_e32 v[14:15], 0
	s_cmp_eq_u32 s15, 0
	s_cbranch_scc1 .LBB6_51
; %bb.49:                               ;   in Loop: Header=BB6_33 Depth=1
	s_wait_xcnt 0x0
	s_mov_b64 s[10:11], 0
	s_mov_b64 s[12:13], 0
.LBB6_50:                               ;   Parent Loop BB6_33 Depth=1
                                        ; =>  This Inner Loop Header: Depth=2
	s_wait_xcnt 0x0
	s_add_nc_u64 s[16:17], s[0:1], s[12:13]
	s_add_nc_u64 s[12:13], s[12:13], 1
	global_load_u8 v1, v5, s[16:17]
	s_cmp_lg_u32 s15, s12
	s_wait_loadcnt 0x0
	v_and_b32_e32 v4, 0xffff, v1
	s_delay_alu instid0(VALU_DEP_1) | instskip(SKIP_1) | instid1(VALU_DEP_1)
	v_lshlrev_b64_e32 v[16:17], s10, v[4:5]
	s_add_nc_u64 s[10:11], s[10:11], 8
	v_or_b32_e32 v14, v16, v14
	s_delay_alu instid0(VALU_DEP_2)
	v_or_b32_e32 v15, v17, v15
	s_cbranch_scc1 .LBB6_50
.LBB6_51:                               ;   in Loop: Header=BB6_33 Depth=1
	s_wait_xcnt 0x0
	s_mov_b64 s[10:11], s[0:1]
	s_mov_b32 s14, 0
	s_cbranch_execz .LBB6_53
	s_branch .LBB6_54
.LBB6_52:                               ;   in Loop: Header=BB6_33 Depth=1
	s_wait_xcnt 0x0
	s_add_nc_u64 s[10:11], s[0:1], 8
	s_mov_b32 s14, 0
.LBB6_53:                               ;   in Loop: Header=BB6_33 Depth=1
	global_load_b64 v[14:15], v5, s[0:1]
	s_add_co_i32 s14, s15, -8
.LBB6_54:                               ;   in Loop: Header=BB6_33 Depth=1
	s_delay_alu instid0(SALU_CYCLE_1)
	s_cmp_gt_u32 s14, 7
	s_cbranch_scc1 .LBB6_59
; %bb.55:                               ;   in Loop: Header=BB6_33 Depth=1
	v_mov_b64_e32 v[16:17], 0
	s_cmp_eq_u32 s14, 0
	s_cbranch_scc1 .LBB6_58
; %bb.56:                               ;   in Loop: Header=BB6_33 Depth=1
	s_wait_xcnt 0x0
	s_mov_b64 s[0:1], 0
	s_mov_b64 s[12:13], 0
.LBB6_57:                               ;   Parent Loop BB6_33 Depth=1
                                        ; =>  This Inner Loop Header: Depth=2
	s_wait_xcnt 0x0
	s_add_nc_u64 s[16:17], s[10:11], s[12:13]
	s_add_nc_u64 s[12:13], s[12:13], 1
	global_load_u8 v1, v5, s[16:17]
	s_cmp_lg_u32 s14, s12
	s_wait_loadcnt 0x0
	v_and_b32_e32 v4, 0xffff, v1
	s_delay_alu instid0(VALU_DEP_1) | instskip(SKIP_1) | instid1(VALU_DEP_1)
	v_lshlrev_b64_e32 v[18:19], s0, v[4:5]
	s_add_nc_u64 s[0:1], s[0:1], 8
	v_or_b32_e32 v16, v18, v16
	s_delay_alu instid0(VALU_DEP_2)
	v_or_b32_e32 v17, v19, v17
	s_cbranch_scc1 .LBB6_57
.LBB6_58:                               ;   in Loop: Header=BB6_33 Depth=1
	s_wait_xcnt 0x0
	s_mov_b64 s[0:1], s[10:11]
	s_mov_b32 s15, 0
	s_cbranch_execz .LBB6_60
	s_branch .LBB6_61
.LBB6_59:                               ;   in Loop: Header=BB6_33 Depth=1
	s_wait_xcnt 0x0
	s_add_nc_u64 s[0:1], s[10:11], 8
                                        ; implicit-def: $vgpr16_vgpr17
	s_mov_b32 s15, 0
.LBB6_60:                               ;   in Loop: Header=BB6_33 Depth=1
	global_load_b64 v[16:17], v5, s[10:11]
	s_add_co_i32 s15, s14, -8
.LBB6_61:                               ;   in Loop: Header=BB6_33 Depth=1
	s_delay_alu instid0(SALU_CYCLE_1)
	s_cmp_gt_u32 s15, 7
	s_cbranch_scc1 .LBB6_66
; %bb.62:                               ;   in Loop: Header=BB6_33 Depth=1
	v_mov_b64_e32 v[18:19], 0
	s_cmp_eq_u32 s15, 0
	s_cbranch_scc1 .LBB6_65
; %bb.63:                               ;   in Loop: Header=BB6_33 Depth=1
	s_wait_xcnt 0x0
	s_mov_b64 s[10:11], 0
	s_mov_b64 s[12:13], 0
.LBB6_64:                               ;   Parent Loop BB6_33 Depth=1
                                        ; =>  This Inner Loop Header: Depth=2
	s_wait_xcnt 0x0
	s_add_nc_u64 s[16:17], s[0:1], s[12:13]
	s_add_nc_u64 s[12:13], s[12:13], 1
	global_load_u8 v1, v5, s[16:17]
	s_cmp_lg_u32 s15, s12
	s_wait_loadcnt 0x0
	v_and_b32_e32 v4, 0xffff, v1
	s_delay_alu instid0(VALU_DEP_1) | instskip(SKIP_1) | instid1(VALU_DEP_1)
	v_lshlrev_b64_e32 v[20:21], s10, v[4:5]
	s_add_nc_u64 s[10:11], s[10:11], 8
	v_or_b32_e32 v18, v20, v18
	s_delay_alu instid0(VALU_DEP_2)
	v_or_b32_e32 v19, v21, v19
	s_cbranch_scc1 .LBB6_64
.LBB6_65:                               ;   in Loop: Header=BB6_33 Depth=1
	s_wait_xcnt 0x0
	s_mov_b64 s[10:11], s[0:1]
	s_mov_b32 s14, 0
	s_cbranch_execz .LBB6_67
	s_branch .LBB6_68
.LBB6_66:                               ;   in Loop: Header=BB6_33 Depth=1
	s_wait_xcnt 0x0
	s_add_nc_u64 s[10:11], s[0:1], 8
	s_mov_b32 s14, 0
.LBB6_67:                               ;   in Loop: Header=BB6_33 Depth=1
	global_load_b64 v[18:19], v5, s[0:1]
	s_add_co_i32 s14, s15, -8
.LBB6_68:                               ;   in Loop: Header=BB6_33 Depth=1
	s_delay_alu instid0(SALU_CYCLE_1)
	s_cmp_gt_u32 s14, 7
	s_cbranch_scc1 .LBB6_73
; %bb.69:                               ;   in Loop: Header=BB6_33 Depth=1
	v_mov_b64_e32 v[20:21], 0
	s_cmp_eq_u32 s14, 0
	s_cbranch_scc1 .LBB6_72
; %bb.70:                               ;   in Loop: Header=BB6_33 Depth=1
	s_wait_xcnt 0x0
	s_mov_b64 s[0:1], 0
	s_mov_b64 s[12:13], 0
.LBB6_71:                               ;   Parent Loop BB6_33 Depth=1
                                        ; =>  This Inner Loop Header: Depth=2
	s_wait_xcnt 0x0
	s_add_nc_u64 s[16:17], s[10:11], s[12:13]
	s_add_nc_u64 s[12:13], s[12:13], 1
	global_load_u8 v1, v5, s[16:17]
	s_cmp_lg_u32 s14, s12
	s_wait_loadcnt 0x0
	v_and_b32_e32 v4, 0xffff, v1
	s_delay_alu instid0(VALU_DEP_1) | instskip(SKIP_1) | instid1(VALU_DEP_1)
	v_lshlrev_b64_e32 v[22:23], s0, v[4:5]
	s_add_nc_u64 s[0:1], s[0:1], 8
	v_or_b32_e32 v20, v22, v20
	s_delay_alu instid0(VALU_DEP_2)
	v_or_b32_e32 v21, v23, v21
	s_cbranch_scc1 .LBB6_71
.LBB6_72:                               ;   in Loop: Header=BB6_33 Depth=1
	s_wait_xcnt 0x0
	s_mov_b64 s[0:1], s[10:11]
	s_mov_b32 s15, 0
	s_cbranch_execz .LBB6_74
	s_branch .LBB6_75
.LBB6_73:                               ;   in Loop: Header=BB6_33 Depth=1
	s_wait_xcnt 0x0
	s_add_nc_u64 s[0:1], s[10:11], 8
                                        ; implicit-def: $vgpr20_vgpr21
	s_mov_b32 s15, 0
.LBB6_74:                               ;   in Loop: Header=BB6_33 Depth=1
	global_load_b64 v[20:21], v5, s[10:11]
	s_add_co_i32 s15, s14, -8
.LBB6_75:                               ;   in Loop: Header=BB6_33 Depth=1
	s_delay_alu instid0(SALU_CYCLE_1)
	s_cmp_gt_u32 s15, 7
	s_cbranch_scc1 .LBB6_80
; %bb.76:                               ;   in Loop: Header=BB6_33 Depth=1
	v_mov_b64_e32 v[22:23], 0
	s_cmp_eq_u32 s15, 0
	s_cbranch_scc1 .LBB6_79
; %bb.77:                               ;   in Loop: Header=BB6_33 Depth=1
	s_wait_xcnt 0x0
	s_mov_b64 s[10:11], 0
	s_mov_b64 s[12:13], s[0:1]
.LBB6_78:                               ;   Parent Loop BB6_33 Depth=1
                                        ; =>  This Inner Loop Header: Depth=2
	global_load_u8 v1, v5, s[12:13]
	s_add_co_i32 s15, s15, -1
	s_wait_xcnt 0x0
	s_add_nc_u64 s[12:13], s[12:13], 1
	s_cmp_lg_u32 s15, 0
	s_wait_loadcnt 0x0
	v_and_b32_e32 v4, 0xffff, v1
	s_delay_alu instid0(VALU_DEP_1) | instskip(SKIP_1) | instid1(VALU_DEP_1)
	v_lshlrev_b64_e32 v[24:25], s10, v[4:5]
	s_add_nc_u64 s[10:11], s[10:11], 8
	v_or_b32_e32 v22, v24, v22
	s_delay_alu instid0(VALU_DEP_2)
	v_or_b32_e32 v23, v25, v23
	s_cbranch_scc1 .LBB6_78
.LBB6_79:                               ;   in Loop: Header=BB6_33 Depth=1
	s_wait_xcnt 0x0
	s_cbranch_execz .LBB6_81
	s_branch .LBB6_82
.LBB6_80:                               ;   in Loop: Header=BB6_33 Depth=1
	s_wait_xcnt 0x0
.LBB6_81:                               ;   in Loop: Header=BB6_33 Depth=1
	global_load_b64 v[22:23], v5, s[0:1]
.LBB6_82:                               ;   in Loop: Header=BB6_33 Depth=1
	s_wait_xcnt 0x0
	v_readfirstlane_b32 s0, v32
	v_mov_b64_e32 v[28:29], 0
	s_delay_alu instid0(VALU_DEP_2)
	v_cmp_eq_u32_e64 s0, s0, v32
	s_and_saveexec_b32 s1, s0
	s_cbranch_execz .LBB6_88
; %bb.83:                               ;   in Loop: Header=BB6_33 Depth=1
	global_load_b64 v[26:27], v5, s[2:3] offset:24 scope:SCOPE_SYS
	s_wait_loadcnt 0x0
	global_inv scope:SCOPE_SYS
	s_clause 0x1
	global_load_b64 v[24:25], v5, s[2:3] offset:40
	global_load_b64 v[28:29], v5, s[2:3]
	s_mov_b32 s10, exec_lo
	s_wait_loadcnt 0x1
	v_and_b32_e32 v24, v24, v26
	v_and_b32_e32 v25, v25, v27
	s_delay_alu instid0(VALU_DEP_1) | instskip(SKIP_1) | instid1(VALU_DEP_1)
	v_mul_u64_e32 v[24:25], 24, v[24:25]
	s_wait_loadcnt 0x0
	v_add_nc_u64_e32 v[24:25], v[28:29], v[24:25]
	global_load_b64 v[24:25], v[24:25], off scope:SCOPE_SYS
	s_wait_xcnt 0x0
	s_wait_loadcnt 0x0
	global_atomic_cmpswap_b64 v[28:29], v5, v[24:27], s[2:3] offset:24 th:TH_ATOMIC_RETURN scope:SCOPE_SYS
	s_wait_loadcnt 0x0
	global_inv scope:SCOPE_SYS
	s_wait_xcnt 0x0
	v_cmpx_ne_u64_e64 v[28:29], v[26:27]
	s_cbranch_execz .LBB6_87
; %bb.84:                               ;   in Loop: Header=BB6_33 Depth=1
	s_mov_b32 s11, 0
.LBB6_85:                               ;   Parent Loop BB6_33 Depth=1
                                        ; =>  This Inner Loop Header: Depth=2
	s_sleep 1
	s_clause 0x1
	global_load_b64 v[24:25], v5, s[2:3] offset:40
	global_load_b64 v[30:31], v5, s[2:3]
	v_mov_b64_e32 v[26:27], v[28:29]
	s_wait_loadcnt 0x1
	s_delay_alu instid0(VALU_DEP_1) | instskip(SKIP_1) | instid1(VALU_DEP_1)
	v_and_b32_e32 v1, v24, v26
	s_wait_loadcnt 0x0
	v_mad_nc_u64_u32 v[28:29], v1, 24, v[30:31]
	s_delay_alu instid0(VALU_DEP_3) | instskip(NEXT) | instid1(VALU_DEP_1)
	v_and_b32_e32 v1, v25, v27
	v_mad_u32 v29, v1, 24, v29
	global_load_b64 v[24:25], v[28:29], off scope:SCOPE_SYS
	s_wait_xcnt 0x0
	s_wait_loadcnt 0x0
	global_atomic_cmpswap_b64 v[28:29], v5, v[24:27], s[2:3] offset:24 th:TH_ATOMIC_RETURN scope:SCOPE_SYS
	s_wait_loadcnt 0x0
	global_inv scope:SCOPE_SYS
	v_cmp_eq_u64_e32 vcc_lo, v[28:29], v[26:27]
	s_or_b32 s11, vcc_lo, s11
	s_wait_xcnt 0x0
	s_and_not1_b32 exec_lo, exec_lo, s11
	s_cbranch_execnz .LBB6_85
; %bb.86:                               ;   in Loop: Header=BB6_33 Depth=1
	s_or_b32 exec_lo, exec_lo, s11
.LBB6_87:                               ;   in Loop: Header=BB6_33 Depth=1
	s_delay_alu instid0(SALU_CYCLE_1)
	s_or_b32 exec_lo, exec_lo, s10
.LBB6_88:                               ;   in Loop: Header=BB6_33 Depth=1
	s_delay_alu instid0(SALU_CYCLE_1)
	s_or_b32 exec_lo, exec_lo, s1
	s_clause 0x1
	global_load_b64 v[30:31], v5, s[2:3] offset:40
	global_load_b128 v[24:27], v5, s[2:3]
	v_readfirstlane_b32 s10, v28
	v_readfirstlane_b32 s11, v29
	s_mov_b32 s1, exec_lo
	s_wait_loadcnt 0x1
	v_and_b32_e32 v30, s10, v30
	v_and_b32_e32 v31, s11, v31
	s_delay_alu instid0(VALU_DEP_1) | instskip(SKIP_1) | instid1(VALU_DEP_1)
	v_mul_u64_e32 v[28:29], 24, v[30:31]
	s_wait_loadcnt 0x0
	v_add_nc_u64_e32 v[28:29], v[24:25], v[28:29]
	s_wait_xcnt 0x0
	s_and_saveexec_b32 s12, s0
	s_cbranch_execz .LBB6_90
; %bb.89:                               ;   in Loop: Header=BB6_33 Depth=1
	v_mov_b32_e32 v4, s1
	global_store_b128 v[28:29], v[4:7], off offset:8
.LBB6_90:                               ;   in Loop: Header=BB6_33 Depth=1
	s_wait_xcnt 0x0
	s_or_b32 exec_lo, exec_lo, s12
	v_cmp_gt_u64_e64 s1, s[6:7], 56
	v_lshlrev_b64_e32 v[30:31], 12, v[30:31]
	v_and_b32_e32 v1, 0xffffff1f, v8
	s_and_b32 s1, s1, exec_lo
	s_delay_alu instid0(VALU_DEP_2) | instskip(SKIP_4) | instid1(VALU_DEP_2)
	v_add_nc_u64_e32 v[26:27], v[26:27], v[30:31]
	s_cselect_b32 s1, 0, 2
	s_lshl_b32 s12, s8, 2
	v_or_b32_e32 v1, s1, v1
	s_add_co_i32 s1, s12, 28
	v_readfirstlane_b32 s12, v26
	s_delay_alu instid0(VALU_DEP_3) | instskip(NEXT) | instid1(VALU_DEP_3)
	v_readfirstlane_b32 s13, v27
	v_and_or_b32 v8, 0x1e0, s1, v1
	s_clause 0x3
	global_store_b128 v0, v[8:11], s[12:13]
	global_store_b128 v0, v[12:15], s[12:13] offset:16
	global_store_b128 v0, v[16:19], s[12:13] offset:32
	;; [unrolled: 1-line block ×3, first 2 shown]
	s_wait_xcnt 0x0
	s_and_saveexec_b32 s1, s0
	s_cbranch_execz .LBB6_98
; %bb.91:                               ;   in Loop: Header=BB6_33 Depth=1
	s_clause 0x1
	global_load_b64 v[16:17], v5, s[2:3] offset:32 scope:SCOPE_SYS
	global_load_b64 v[8:9], v5, s[2:3] offset:40
	s_mov_b32 s12, exec_lo
	v_dual_mov_b32 v14, s10 :: v_dual_mov_b32 v15, s11
	s_wait_loadcnt 0x0
	v_and_b32_e32 v9, s11, v9
	v_and_b32_e32 v8, s10, v8
	s_delay_alu instid0(VALU_DEP_1) | instskip(NEXT) | instid1(VALU_DEP_1)
	v_mul_u64_e32 v[8:9], 24, v[8:9]
	v_add_nc_u64_e32 v[12:13], v[24:25], v[8:9]
	global_store_b64 v[12:13], v[16:17], off
	global_wb scope:SCOPE_SYS
	s_wait_storecnt 0x0
	s_wait_xcnt 0x0
	global_atomic_cmpswap_b64 v[10:11], v5, v[14:17], s[2:3] offset:32 th:TH_ATOMIC_RETURN scope:SCOPE_SYS
	s_wait_loadcnt 0x0
	v_cmpx_ne_u64_e64 v[10:11], v[16:17]
	s_cbranch_execz .LBB6_94
; %bb.92:                               ;   in Loop: Header=BB6_33 Depth=1
	s_mov_b32 s13, 0
.LBB6_93:                               ;   Parent Loop BB6_33 Depth=1
                                        ; =>  This Inner Loop Header: Depth=2
	v_dual_mov_b32 v8, s10 :: v_dual_mov_b32 v9, s11
	s_sleep 1
	global_store_b64 v[12:13], v[10:11], off
	global_wb scope:SCOPE_SYS
	s_wait_storecnt 0x0
	s_wait_xcnt 0x0
	global_atomic_cmpswap_b64 v[8:9], v5, v[8:11], s[2:3] offset:32 th:TH_ATOMIC_RETURN scope:SCOPE_SYS
	s_wait_loadcnt 0x0
	v_cmp_eq_u64_e32 vcc_lo, v[8:9], v[10:11]
	v_mov_b64_e32 v[10:11], v[8:9]
	s_or_b32 s13, vcc_lo, s13
	s_delay_alu instid0(SALU_CYCLE_1)
	s_and_not1_b32 exec_lo, exec_lo, s13
	s_cbranch_execnz .LBB6_93
.LBB6_94:                               ;   in Loop: Header=BB6_33 Depth=1
	s_or_b32 exec_lo, exec_lo, s12
	global_load_b64 v[8:9], v5, s[2:3] offset:16
	s_mov_b32 s13, exec_lo
	s_mov_b32 s12, exec_lo
	v_mbcnt_lo_u32_b32 v1, s13, 0
	s_wait_xcnt 0x0
	s_delay_alu instid0(VALU_DEP_1)
	v_cmpx_eq_u32_e32 0, v1
	s_cbranch_execz .LBB6_96
; %bb.95:                               ;   in Loop: Header=BB6_33 Depth=1
	s_bcnt1_i32_b32 s13, s13
	s_delay_alu instid0(SALU_CYCLE_1)
	v_mov_b32_e32 v4, s13
	global_wb scope:SCOPE_SYS
	s_wait_loadcnt 0x0
	s_wait_storecnt 0x0
	global_atomic_add_u64 v[8:9], v[4:5], off offset:8 scope:SCOPE_SYS
.LBB6_96:                               ;   in Loop: Header=BB6_33 Depth=1
	s_wait_xcnt 0x0
	s_or_b32 exec_lo, exec_lo, s12
	s_wait_loadcnt 0x0
	global_load_b64 v[10:11], v[8:9], off offset:16
	s_wait_loadcnt 0x0
	v_cmp_eq_u64_e32 vcc_lo, 0, v[10:11]
	s_cbranch_vccnz .LBB6_98
; %bb.97:                               ;   in Loop: Header=BB6_33 Depth=1
	global_load_b32 v4, v[8:9], off offset:24
	s_wait_loadcnt 0x0
	v_readfirstlane_b32 s12, v4
	global_wb scope:SCOPE_SYS
	s_wait_storecnt 0x0
	s_wait_xcnt 0x0
	global_store_b64 v[10:11], v[4:5], off scope:SCOPE_SYS
	s_and_b32 m0, s12, 0xffffff
	s_sendmsg sendmsg(MSG_INTERRUPT)
.LBB6_98:                               ;   in Loop: Header=BB6_33 Depth=1
	s_wait_xcnt 0x0
	s_or_b32 exec_lo, exec_lo, s1
	v_mov_b32_e32 v1, v5
	s_delay_alu instid0(VALU_DEP_1)
	v_add_nc_u64_e32 v[8:9], v[26:27], v[0:1]
	s_branch .LBB6_102
.LBB6_99:                               ;   in Loop: Header=BB6_102 Depth=2
	s_wait_xcnt 0x0
	s_or_b32 exec_lo, exec_lo, s1
	s_delay_alu instid0(VALU_DEP_1)
	v_readfirstlane_b32 s1, v1
	s_cmp_eq_u32 s1, 0
	s_cbranch_scc1 .LBB6_101
; %bb.100:                              ;   in Loop: Header=BB6_102 Depth=2
	s_sleep 1
	s_cbranch_execnz .LBB6_102
	s_branch .LBB6_104
.LBB6_101:                              ;   in Loop: Header=BB6_33 Depth=1
	s_branch .LBB6_104
.LBB6_102:                              ;   Parent Loop BB6_33 Depth=1
                                        ; =>  This Inner Loop Header: Depth=2
	v_mov_b32_e32 v1, 1
	s_and_saveexec_b32 s1, s0
	s_cbranch_execz .LBB6_99
; %bb.103:                              ;   in Loop: Header=BB6_102 Depth=2
	global_load_b32 v1, v[28:29], off offset:20 scope:SCOPE_SYS
	s_wait_loadcnt 0x0
	global_inv scope:SCOPE_SYS
	v_and_b32_e32 v1, 1, v1
	s_branch .LBB6_99
.LBB6_104:                              ;   in Loop: Header=BB6_33 Depth=1
	global_load_b128 v[8:11], v[8:9], off
	s_wait_xcnt 0x0
	s_and_saveexec_b32 s12, s0
	s_cbranch_execz .LBB6_32
; %bb.105:                              ;   in Loop: Header=BB6_33 Depth=1
	s_wait_loadcnt 0x0
	s_clause 0x2
	global_load_b64 v[10:11], v5, s[2:3] offset:40
	global_load_b64 v[18:19], v5, s[2:3] offset:24 scope:SCOPE_SYS
	global_load_b64 v[12:13], v5, s[2:3]
	s_wait_loadcnt 0x2
	v_readfirstlane_b32 s14, v10
	v_readfirstlane_b32 s15, v11
	s_add_nc_u64 s[0:1], s[14:15], 1
	s_delay_alu instid0(SALU_CYCLE_1) | instskip(NEXT) | instid1(SALU_CYCLE_1)
	s_add_nc_u64 s[10:11], s[0:1], s[10:11]
	s_cmp_eq_u64 s[10:11], 0
	s_cselect_b32 s1, s1, s11
	s_cselect_b32 s0, s0, s10
	s_delay_alu instid0(SALU_CYCLE_1) | instskip(SKIP_1) | instid1(SALU_CYCLE_1)
	v_dual_mov_b32 v17, s1 :: v_dual_mov_b32 v16, s0
	s_and_b64 s[10:11], s[0:1], s[14:15]
	s_mul_u64 s[10:11], s[10:11], 24
	s_wait_loadcnt 0x0
	v_add_nc_u64_e32 v[14:15], s[10:11], v[12:13]
	global_store_b64 v[14:15], v[18:19], off
	global_wb scope:SCOPE_SYS
	s_wait_storecnt 0x0
	s_wait_xcnt 0x0
	global_atomic_cmpswap_b64 v[12:13], v5, v[16:19], s[2:3] offset:24 th:TH_ATOMIC_RETURN scope:SCOPE_SYS
	s_wait_loadcnt 0x0
	v_cmp_ne_u64_e32 vcc_lo, v[12:13], v[18:19]
	s_and_b32 exec_lo, exec_lo, vcc_lo
	s_cbranch_execz .LBB6_32
; %bb.106:                              ;   in Loop: Header=BB6_33 Depth=1
	s_mov_b32 s10, 0
.LBB6_107:                              ;   Parent Loop BB6_33 Depth=1
                                        ; =>  This Inner Loop Header: Depth=2
	v_dual_mov_b32 v10, s0 :: v_dual_mov_b32 v11, s1
	s_sleep 1
	global_store_b64 v[14:15], v[12:13], off
	global_wb scope:SCOPE_SYS
	s_wait_storecnt 0x0
	s_wait_xcnt 0x0
	global_atomic_cmpswap_b64 v[10:11], v5, v[10:13], s[2:3] offset:24 th:TH_ATOMIC_RETURN scope:SCOPE_SYS
	s_wait_loadcnt 0x0
	v_cmp_eq_u64_e32 vcc_lo, v[10:11], v[12:13]
	v_mov_b64_e32 v[12:13], v[10:11]
	s_or_b32 s10, vcc_lo, s10
	s_delay_alu instid0(SALU_CYCLE_1)
	s_and_not1_b32 exec_lo, exec_lo, s10
	s_cbranch_execnz .LBB6_107
	s_branch .LBB6_32
.LBB6_108:
	s_branch .LBB6_136
.LBB6_109:
	s_cbranch_execz .LBB6_136
; %bb.110:
	v_readfirstlane_b32 s0, v32
	s_wait_loadcnt 0x0
	v_mov_b64_e32 v[10:11], 0
	s_delay_alu instid0(VALU_DEP_2)
	v_cmp_eq_u32_e64 s0, s0, v32
	s_and_saveexec_b32 s1, s0
	s_cbranch_execz .LBB6_116
; %bb.111:
	v_mov_b32_e32 v1, 0
	s_mov_b32 s4, exec_lo
	global_load_b64 v[6:7], v1, s[2:3] offset:24 scope:SCOPE_SYS
	s_wait_loadcnt 0x0
	global_inv scope:SCOPE_SYS
	s_clause 0x1
	global_load_b64 v[4:5], v1, s[2:3] offset:40
	global_load_b64 v[8:9], v1, s[2:3]
	s_wait_loadcnt 0x1
	v_and_b32_e32 v4, v4, v6
	v_and_b32_e32 v5, v5, v7
	s_delay_alu instid0(VALU_DEP_1) | instskip(SKIP_1) | instid1(VALU_DEP_1)
	v_mul_u64_e32 v[4:5], 24, v[4:5]
	s_wait_loadcnt 0x0
	v_add_nc_u64_e32 v[4:5], v[8:9], v[4:5]
	global_load_b64 v[4:5], v[4:5], off scope:SCOPE_SYS
	s_wait_xcnt 0x0
	s_wait_loadcnt 0x0
	global_atomic_cmpswap_b64 v[10:11], v1, v[4:7], s[2:3] offset:24 th:TH_ATOMIC_RETURN scope:SCOPE_SYS
	s_wait_loadcnt 0x0
	global_inv scope:SCOPE_SYS
	s_wait_xcnt 0x0
	v_cmpx_ne_u64_e64 v[10:11], v[6:7]
	s_cbranch_execz .LBB6_115
; %bb.112:
	s_mov_b32 s5, 0
.LBB6_113:                              ; =>This Inner Loop Header: Depth=1
	s_sleep 1
	s_clause 0x1
	global_load_b64 v[4:5], v1, s[2:3] offset:40
	global_load_b64 v[8:9], v1, s[2:3]
	v_mov_b64_e32 v[6:7], v[10:11]
	s_wait_loadcnt 0x1
	s_delay_alu instid0(VALU_DEP_1) | instskip(SKIP_1) | instid1(VALU_DEP_1)
	v_and_b32_e32 v4, v4, v6
	s_wait_loadcnt 0x0
	v_mad_nc_u64_u32 v[8:9], v4, 24, v[8:9]
	s_delay_alu instid0(VALU_DEP_3) | instskip(NEXT) | instid1(VALU_DEP_1)
	v_and_b32_e32 v4, v5, v7
	v_mad_u32 v9, v4, 24, v9
	global_load_b64 v[4:5], v[8:9], off scope:SCOPE_SYS
	s_wait_xcnt 0x0
	s_wait_loadcnt 0x0
	global_atomic_cmpswap_b64 v[10:11], v1, v[4:7], s[2:3] offset:24 th:TH_ATOMIC_RETURN scope:SCOPE_SYS
	s_wait_loadcnt 0x0
	global_inv scope:SCOPE_SYS
	v_cmp_eq_u64_e32 vcc_lo, v[10:11], v[6:7]
	s_or_b32 s5, vcc_lo, s5
	s_wait_xcnt 0x0
	s_and_not1_b32 exec_lo, exec_lo, s5
	s_cbranch_execnz .LBB6_113
; %bb.114:
	s_or_b32 exec_lo, exec_lo, s5
.LBB6_115:
	s_delay_alu instid0(SALU_CYCLE_1)
	s_or_b32 exec_lo, exec_lo, s4
.LBB6_116:
	s_delay_alu instid0(SALU_CYCLE_1)
	s_or_b32 exec_lo, exec_lo, s1
	v_readfirstlane_b32 s4, v10
	v_mov_b32_e32 v4, 0
	v_readfirstlane_b32 s5, v11
	s_mov_b32 s1, exec_lo
	s_clause 0x1
	global_load_b64 v[12:13], v4, s[2:3] offset:40
	global_load_b128 v[6:9], v4, s[2:3]
	s_wait_loadcnt 0x1
	v_and_b32_e32 v12, s4, v12
	v_and_b32_e32 v13, s5, v13
	s_delay_alu instid0(VALU_DEP_1) | instskip(SKIP_1) | instid1(VALU_DEP_1)
	v_mul_u64_e32 v[10:11], 24, v[12:13]
	s_wait_loadcnt 0x0
	v_add_nc_u64_e32 v[10:11], v[6:7], v[10:11]
	s_wait_xcnt 0x0
	s_and_saveexec_b32 s6, s0
	s_cbranch_execz .LBB6_118
; %bb.117:
	v_mov_b64_e32 v[16:17], 0x100000002
	v_dual_mov_b32 v14, s1 :: v_dual_mov_b32 v15, v4
	global_store_b128 v[10:11], v[14:17], off offset:8
.LBB6_118:
	s_wait_xcnt 0x0
	s_or_b32 exec_lo, exec_lo, s6
	v_lshlrev_b64_e32 v[12:13], 12, v[12:13]
	s_mov_b32 s8, 0
	v_and_or_b32 v2, 0xffffff1d, v2, 34
	s_mov_b32 s10, s8
	s_mov_b32 s11, s8
	;; [unrolled: 1-line block ×3, first 2 shown]
	v_mov_b32_e32 v5, v4
	v_add_nc_u64_e32 v[8:9], v[8:9], v[12:13]
	v_mov_b64_e32 v[14:15], s[10:11]
	v_mov_b64_e32 v[12:13], s[8:9]
	s_delay_alu instid0(VALU_DEP_3) | instskip(NEXT) | instid1(VALU_DEP_4)
	v_readfirstlane_b32 s6, v8
	v_readfirstlane_b32 s7, v9
	s_clause 0x3
	global_store_b128 v0, v[2:5], s[6:7]
	global_store_b128 v0, v[12:15], s[6:7] offset:16
	global_store_b128 v0, v[12:15], s[6:7] offset:32
	;; [unrolled: 1-line block ×3, first 2 shown]
	s_wait_xcnt 0x0
	s_and_saveexec_b32 s1, s0
	s_cbranch_execz .LBB6_126
; %bb.119:
	v_dual_mov_b32 v8, 0 :: v_dual_mov_b32 v13, s5
	s_mov_b32 s6, exec_lo
	s_clause 0x1
	global_load_b64 v[14:15], v8, s[2:3] offset:32 scope:SCOPE_SYS
	global_load_b64 v[0:1], v8, s[2:3] offset:40
	s_wait_loadcnt 0x0
	v_dual_mov_b32 v12, s4 :: v_dual_bitop2_b32 v1, s5, v1 bitop3:0x40
	v_and_b32_e32 v0, s4, v0
	s_delay_alu instid0(VALU_DEP_1) | instskip(NEXT) | instid1(VALU_DEP_1)
	v_mul_u64_e32 v[0:1], 24, v[0:1]
	v_add_nc_u64_e32 v[4:5], v[6:7], v[0:1]
	global_store_b64 v[4:5], v[14:15], off
	global_wb scope:SCOPE_SYS
	s_wait_storecnt 0x0
	s_wait_xcnt 0x0
	global_atomic_cmpswap_b64 v[2:3], v8, v[12:15], s[2:3] offset:32 th:TH_ATOMIC_RETURN scope:SCOPE_SYS
	s_wait_loadcnt 0x0
	v_cmpx_ne_u64_e64 v[2:3], v[14:15]
	s_cbranch_execz .LBB6_122
; %bb.120:
	s_mov_b32 s7, 0
.LBB6_121:                              ; =>This Inner Loop Header: Depth=1
	v_dual_mov_b32 v0, s4 :: v_dual_mov_b32 v1, s5
	s_sleep 1
	global_store_b64 v[4:5], v[2:3], off
	global_wb scope:SCOPE_SYS
	s_wait_storecnt 0x0
	s_wait_xcnt 0x0
	global_atomic_cmpswap_b64 v[0:1], v8, v[0:3], s[2:3] offset:32 th:TH_ATOMIC_RETURN scope:SCOPE_SYS
	s_wait_loadcnt 0x0
	v_cmp_eq_u64_e32 vcc_lo, v[0:1], v[2:3]
	v_mov_b64_e32 v[2:3], v[0:1]
	s_or_b32 s7, vcc_lo, s7
	s_delay_alu instid0(SALU_CYCLE_1)
	s_and_not1_b32 exec_lo, exec_lo, s7
	s_cbranch_execnz .LBB6_121
.LBB6_122:
	s_or_b32 exec_lo, exec_lo, s6
	v_mov_b32_e32 v3, 0
	s_mov_b32 s7, exec_lo
	s_mov_b32 s6, exec_lo
	v_mbcnt_lo_u32_b32 v2, s7, 0
	global_load_b64 v[0:1], v3, s[2:3] offset:16
	s_wait_xcnt 0x0
	v_cmpx_eq_u32_e32 0, v2
	s_cbranch_execz .LBB6_124
; %bb.123:
	s_bcnt1_i32_b32 s7, s7
	s_delay_alu instid0(SALU_CYCLE_1)
	v_mov_b32_e32 v2, s7
	global_wb scope:SCOPE_SYS
	s_wait_loadcnt 0x0
	s_wait_storecnt 0x0
	global_atomic_add_u64 v[0:1], v[2:3], off offset:8 scope:SCOPE_SYS
.LBB6_124:
	s_wait_xcnt 0x0
	s_or_b32 exec_lo, exec_lo, s6
	s_wait_loadcnt 0x0
	global_load_b64 v[2:3], v[0:1], off offset:16
	s_wait_loadcnt 0x0
	v_cmp_eq_u64_e32 vcc_lo, 0, v[2:3]
	s_cbranch_vccnz .LBB6_126
; %bb.125:
	global_load_b32 v0, v[0:1], off offset:24
	s_wait_xcnt 0x0
	v_mov_b32_e32 v1, 0
	s_wait_loadcnt 0x0
	v_readfirstlane_b32 s6, v0
	global_wb scope:SCOPE_SYS
	s_wait_storecnt 0x0
	global_store_b64 v[2:3], v[0:1], off scope:SCOPE_SYS
	s_and_b32 m0, s6, 0xffffff
	s_sendmsg sendmsg(MSG_INTERRUPT)
.LBB6_126:
	s_wait_xcnt 0x0
	s_or_b32 exec_lo, exec_lo, s1
	s_branch .LBB6_130
.LBB6_127:                              ;   in Loop: Header=BB6_130 Depth=1
	s_wait_xcnt 0x0
	s_or_b32 exec_lo, exec_lo, s1
	s_delay_alu instid0(VALU_DEP_1)
	v_readfirstlane_b32 s1, v0
	s_cmp_eq_u32 s1, 0
	s_cbranch_scc1 .LBB6_129
; %bb.128:                              ;   in Loop: Header=BB6_130 Depth=1
	s_sleep 1
	s_cbranch_execnz .LBB6_130
	s_branch .LBB6_132
.LBB6_129:
	s_branch .LBB6_132
.LBB6_130:                              ; =>This Inner Loop Header: Depth=1
	v_mov_b32_e32 v0, 1
	s_and_saveexec_b32 s1, s0
	s_cbranch_execz .LBB6_127
; %bb.131:                              ;   in Loop: Header=BB6_130 Depth=1
	global_load_b32 v0, v[10:11], off offset:20 scope:SCOPE_SYS
	s_wait_loadcnt 0x0
	global_inv scope:SCOPE_SYS
	v_and_b32_e32 v0, 1, v0
	s_branch .LBB6_127
.LBB6_132:
	s_and_saveexec_b32 s1, s0
	s_cbranch_execz .LBB6_136
; %bb.133:
	v_mov_b32_e32 v6, 0
	s_clause 0x2
	global_load_b64 v[0:1], v6, s[2:3] offset:40
	global_load_b64 v[10:11], v6, s[2:3] offset:24 scope:SCOPE_SYS
	global_load_b64 v[2:3], v6, s[2:3]
	s_wait_loadcnt 0x2
	v_readfirstlane_b32 s6, v0
	v_readfirstlane_b32 s7, v1
	s_add_nc_u64 s[0:1], s[6:7], 1
	s_delay_alu instid0(SALU_CYCLE_1) | instskip(NEXT) | instid1(SALU_CYCLE_1)
	s_add_nc_u64 s[4:5], s[0:1], s[4:5]
	s_cmp_eq_u64 s[4:5], 0
	s_cselect_b32 s1, s1, s5
	s_cselect_b32 s0, s0, s4
	v_mov_b32_e32 v9, s1
	s_and_b64 s[4:5], s[0:1], s[6:7]
	v_mov_b32_e32 v8, s0
	s_mul_u64 s[4:5], s[4:5], 24
	s_wait_loadcnt 0x0
	v_add_nc_u64_e32 v[4:5], s[4:5], v[2:3]
	global_store_b64 v[4:5], v[10:11], off
	global_wb scope:SCOPE_SYS
	s_wait_storecnt 0x0
	s_wait_xcnt 0x0
	global_atomic_cmpswap_b64 v[2:3], v6, v[8:11], s[2:3] offset:24 th:TH_ATOMIC_RETURN scope:SCOPE_SYS
	s_wait_loadcnt 0x0
	v_cmp_ne_u64_e32 vcc_lo, v[2:3], v[10:11]
	s_and_b32 exec_lo, exec_lo, vcc_lo
	s_cbranch_execz .LBB6_136
; %bb.134:
	s_mov_b32 s4, 0
.LBB6_135:                              ; =>This Inner Loop Header: Depth=1
	v_dual_mov_b32 v0, s0 :: v_dual_mov_b32 v1, s1
	s_sleep 1
	global_store_b64 v[4:5], v[2:3], off
	global_wb scope:SCOPE_SYS
	s_wait_storecnt 0x0
	s_wait_xcnt 0x0
	global_atomic_cmpswap_b64 v[0:1], v6, v[0:3], s[2:3] offset:24 th:TH_ATOMIC_RETURN scope:SCOPE_SYS
	s_wait_loadcnt 0x0
	v_cmp_eq_u64_e32 vcc_lo, v[0:1], v[2:3]
	v_mov_b64_e32 v[2:3], v[0:1]
	s_or_b32 s4, vcc_lo, s4
	s_delay_alu instid0(SALU_CYCLE_1)
	s_and_not1_b32 exec_lo, exec_lo, s4
	s_cbranch_execnz .LBB6_135
.LBB6_136:
	s_endpgm
	.section	.rodata,"a",@progbits
	.p2align	6, 0x0
	.amdhsa_kernel _ZN2at6native30tinygemm_m16n8k16_chunk_kernelINS0_10ALayout_RMILNS0_14KReductionTypeE0EEENS0_15BLayout_TC_int4ILi2ELi128EEES4_Li8ELi8EEEvPKvS8_S8_Pviiiiii
		.amdhsa_group_segment_fixed_size 0
		.amdhsa_private_segment_fixed_size 0
		.amdhsa_kernarg_size 312
		.amdhsa_user_sgpr_count 2
		.amdhsa_user_sgpr_dispatch_ptr 0
		.amdhsa_user_sgpr_queue_ptr 0
		.amdhsa_user_sgpr_kernarg_segment_ptr 1
		.amdhsa_user_sgpr_dispatch_id 0
		.amdhsa_user_sgpr_kernarg_preload_length 0
		.amdhsa_user_sgpr_kernarg_preload_offset 0
		.amdhsa_user_sgpr_private_segment_size 0
		.amdhsa_wavefront_size32 1
		.amdhsa_uses_dynamic_stack 0
		.amdhsa_enable_private_segment 0
		.amdhsa_system_sgpr_workgroup_id_x 1
		.amdhsa_system_sgpr_workgroup_id_y 0
		.amdhsa_system_sgpr_workgroup_id_z 0
		.amdhsa_system_sgpr_workgroup_info 0
		.amdhsa_system_vgpr_workitem_id 0
		.amdhsa_next_free_vgpr 33
		.amdhsa_next_free_sgpr 18
		.amdhsa_named_barrier_count 0
		.amdhsa_reserve_vcc 1
		.amdhsa_float_round_mode_32 0
		.amdhsa_float_round_mode_16_64 0
		.amdhsa_float_denorm_mode_32 3
		.amdhsa_float_denorm_mode_16_64 3
		.amdhsa_fp16_overflow 0
		.amdhsa_memory_ordered 1
		.amdhsa_forward_progress 1
		.amdhsa_inst_pref_size 43
		.amdhsa_round_robin_scheduling 0
		.amdhsa_exception_fp_ieee_invalid_op 0
		.amdhsa_exception_fp_denorm_src 0
		.amdhsa_exception_fp_ieee_div_zero 0
		.amdhsa_exception_fp_ieee_overflow 0
		.amdhsa_exception_fp_ieee_underflow 0
		.amdhsa_exception_fp_ieee_inexact 0
		.amdhsa_exception_int_div_zero 0
	.end_amdhsa_kernel
	.section	.text._ZN2at6native30tinygemm_m16n8k16_chunk_kernelINS0_10ALayout_RMILNS0_14KReductionTypeE0EEENS0_15BLayout_TC_int4ILi2ELi128EEES4_Li8ELi8EEEvPKvS8_S8_Pviiiiii,"axG",@progbits,_ZN2at6native30tinygemm_m16n8k16_chunk_kernelINS0_10ALayout_RMILNS0_14KReductionTypeE0EEENS0_15BLayout_TC_int4ILi2ELi128EEES4_Li8ELi8EEEvPKvS8_S8_Pviiiiii,comdat
.Lfunc_end6:
	.size	_ZN2at6native30tinygemm_m16n8k16_chunk_kernelINS0_10ALayout_RMILNS0_14KReductionTypeE0EEENS0_15BLayout_TC_int4ILi2ELi128EEES4_Li8ELi8EEEvPKvS8_S8_Pviiiiii, .Lfunc_end6-_ZN2at6native30tinygemm_m16n8k16_chunk_kernelINS0_10ALayout_RMILNS0_14KReductionTypeE0EEENS0_15BLayout_TC_int4ILi2ELi128EEES4_Li8ELi8EEEvPKvS8_S8_Pviiiiii
                                        ; -- End function
	.set _ZN2at6native30tinygemm_m16n8k16_chunk_kernelINS0_10ALayout_RMILNS0_14KReductionTypeE0EEENS0_15BLayout_TC_int4ILi2ELi128EEES4_Li8ELi8EEEvPKvS8_S8_Pviiiiii.num_vgpr, 33
	.set _ZN2at6native30tinygemm_m16n8k16_chunk_kernelINS0_10ALayout_RMILNS0_14KReductionTypeE0EEENS0_15BLayout_TC_int4ILi2ELi128EEES4_Li8ELi8EEEvPKvS8_S8_Pviiiiii.num_agpr, 0
	.set _ZN2at6native30tinygemm_m16n8k16_chunk_kernelINS0_10ALayout_RMILNS0_14KReductionTypeE0EEENS0_15BLayout_TC_int4ILi2ELi128EEES4_Li8ELi8EEEvPKvS8_S8_Pviiiiii.numbered_sgpr, 18
	.set _ZN2at6native30tinygemm_m16n8k16_chunk_kernelINS0_10ALayout_RMILNS0_14KReductionTypeE0EEENS0_15BLayout_TC_int4ILi2ELi128EEES4_Li8ELi8EEEvPKvS8_S8_Pviiiiii.num_named_barrier, 0
	.set _ZN2at6native30tinygemm_m16n8k16_chunk_kernelINS0_10ALayout_RMILNS0_14KReductionTypeE0EEENS0_15BLayout_TC_int4ILi2ELi128EEES4_Li8ELi8EEEvPKvS8_S8_Pviiiiii.private_seg_size, 0
	.set _ZN2at6native30tinygemm_m16n8k16_chunk_kernelINS0_10ALayout_RMILNS0_14KReductionTypeE0EEENS0_15BLayout_TC_int4ILi2ELi128EEES4_Li8ELi8EEEvPKvS8_S8_Pviiiiii.uses_vcc, 1
	.set _ZN2at6native30tinygemm_m16n8k16_chunk_kernelINS0_10ALayout_RMILNS0_14KReductionTypeE0EEENS0_15BLayout_TC_int4ILi2ELi128EEES4_Li8ELi8EEEvPKvS8_S8_Pviiiiii.uses_flat_scratch, 0
	.set _ZN2at6native30tinygemm_m16n8k16_chunk_kernelINS0_10ALayout_RMILNS0_14KReductionTypeE0EEENS0_15BLayout_TC_int4ILi2ELi128EEES4_Li8ELi8EEEvPKvS8_S8_Pviiiiii.has_dyn_sized_stack, 0
	.set _ZN2at6native30tinygemm_m16n8k16_chunk_kernelINS0_10ALayout_RMILNS0_14KReductionTypeE0EEENS0_15BLayout_TC_int4ILi2ELi128EEES4_Li8ELi8EEEvPKvS8_S8_Pviiiiii.has_recursion, 0
	.set _ZN2at6native30tinygemm_m16n8k16_chunk_kernelINS0_10ALayout_RMILNS0_14KReductionTypeE0EEENS0_15BLayout_TC_int4ILi2ELi128EEES4_Li8ELi8EEEvPKvS8_S8_Pviiiiii.has_indirect_call, 0
	.section	.AMDGPU.csdata,"",@progbits
; Kernel info:
; codeLenInByte = 5440
; TotalNumSgprs: 20
; NumVgprs: 33
; ScratchSize: 0
; MemoryBound: 0
; FloatMode: 240
; IeeeMode: 1
; LDSByteSize: 0 bytes/workgroup (compile time only)
; SGPRBlocks: 0
; VGPRBlocks: 2
; NumSGPRsForWavesPerEU: 20
; NumVGPRsForWavesPerEU: 33
; NamedBarCnt: 0
; Occupancy: 16
; WaveLimiterHint : 1
; COMPUTE_PGM_RSRC2:SCRATCH_EN: 0
; COMPUTE_PGM_RSRC2:USER_SGPR: 2
; COMPUTE_PGM_RSRC2:TRAP_HANDLER: 0
; COMPUTE_PGM_RSRC2:TGID_X_EN: 1
; COMPUTE_PGM_RSRC2:TGID_Y_EN: 0
; COMPUTE_PGM_RSRC2:TGID_Z_EN: 0
; COMPUTE_PGM_RSRC2:TIDIG_COMP_CNT: 0
	.section	.text._ZN2at6native30tinygemm_m16n8k16_chunk_kernelINS0_10ALayout_RMILNS0_14KReductionTypeE0EEENS0_15BLayout_TC_int4ILi4ELi128EEES4_Li8ELi8EEEvPKvS8_S8_Pviiiiii,"axG",@progbits,_ZN2at6native30tinygemm_m16n8k16_chunk_kernelINS0_10ALayout_RMILNS0_14KReductionTypeE0EEENS0_15BLayout_TC_int4ILi4ELi128EEES4_Li8ELi8EEEvPKvS8_S8_Pviiiiii,comdat
	.protected	_ZN2at6native30tinygemm_m16n8k16_chunk_kernelINS0_10ALayout_RMILNS0_14KReductionTypeE0EEENS0_15BLayout_TC_int4ILi4ELi128EEES4_Li8ELi8EEEvPKvS8_S8_Pviiiiii ; -- Begin function _ZN2at6native30tinygemm_m16n8k16_chunk_kernelINS0_10ALayout_RMILNS0_14KReductionTypeE0EEENS0_15BLayout_TC_int4ILi4ELi128EEES4_Li8ELi8EEEvPKvS8_S8_Pviiiiii
	.globl	_ZN2at6native30tinygemm_m16n8k16_chunk_kernelINS0_10ALayout_RMILNS0_14KReductionTypeE0EEENS0_15BLayout_TC_int4ILi4ELi128EEES4_Li8ELi8EEEvPKvS8_S8_Pviiiiii
	.p2align	8
	.type	_ZN2at6native30tinygemm_m16n8k16_chunk_kernelINS0_10ALayout_RMILNS0_14KReductionTypeE0EEENS0_15BLayout_TC_int4ILi4ELi128EEES4_Li8ELi8EEEvPKvS8_S8_Pviiiiii,@function
_ZN2at6native30tinygemm_m16n8k16_chunk_kernelINS0_10ALayout_RMILNS0_14KReductionTypeE0EEENS0_15BLayout_TC_int4ILi4ELi128EEES4_Li8ELi8EEEvPKvS8_S8_Pviiiiii: ; @_ZN2at6native30tinygemm_m16n8k16_chunk_kernelINS0_10ALayout_RMILNS0_14KReductionTypeE0EEENS0_15BLayout_TC_int4ILi4ELi128EEES4_Li8ELi8EEEvPKvS8_S8_Pviiiiii
; %bb.0:
	s_load_b64 s[2:3], s[0:1], 0x88
	v_mbcnt_lo_u32_b32 v32, -1, 0
	v_mov_b64_e32 v[2:3], 0
	s_wait_xcnt 0x0
	s_delay_alu instid0(VALU_DEP_2) | instskip(NEXT) | instid1(VALU_DEP_1)
	v_readfirstlane_b32 s0, v32
	v_cmp_eq_u32_e64 s0, s0, v32
	s_and_saveexec_b32 s1, s0
	s_cbranch_execz .LBB7_6
; %bb.1:
	v_mov_b32_e32 v0, 0
	s_mov_b32 s4, exec_lo
	s_wait_kmcnt 0x0
	global_load_b64 v[4:5], v0, s[2:3] offset:24 scope:SCOPE_SYS
	s_wait_loadcnt 0x0
	global_inv scope:SCOPE_SYS
	s_clause 0x1
	global_load_b64 v[2:3], v0, s[2:3] offset:40
	global_load_b64 v[6:7], v0, s[2:3]
	s_wait_loadcnt 0x1
	v_and_b32_e32 v2, v2, v4
	v_and_b32_e32 v3, v3, v5
	s_delay_alu instid0(VALU_DEP_1) | instskip(SKIP_1) | instid1(VALU_DEP_1)
	v_mul_u64_e32 v[2:3], 24, v[2:3]
	s_wait_loadcnt 0x0
	v_add_nc_u64_e32 v[2:3], v[6:7], v[2:3]
	global_load_b64 v[2:3], v[2:3], off scope:SCOPE_SYS
	s_wait_xcnt 0x0
	s_wait_loadcnt 0x0
	global_atomic_cmpswap_b64 v[2:3], v0, v[2:5], s[2:3] offset:24 th:TH_ATOMIC_RETURN scope:SCOPE_SYS
	s_wait_loadcnt 0x0
	global_inv scope:SCOPE_SYS
	s_wait_xcnt 0x0
	v_cmpx_ne_u64_e64 v[2:3], v[4:5]
	s_cbranch_execz .LBB7_5
; %bb.2:
	s_mov_b32 s5, 0
.LBB7_3:                                ; =>This Inner Loop Header: Depth=1
	s_sleep 1
	s_clause 0x1
	global_load_b64 v[6:7], v0, s[2:3] offset:40
	global_load_b64 v[8:9], v0, s[2:3]
	v_mov_b64_e32 v[4:5], v[2:3]
	s_wait_loadcnt 0x1
	s_delay_alu instid0(VALU_DEP_1) | instskip(SKIP_1) | instid1(VALU_DEP_1)
	v_and_b32_e32 v1, v6, v4
	s_wait_loadcnt 0x0
	v_mad_nc_u64_u32 v[2:3], v1, 24, v[8:9]
	s_delay_alu instid0(VALU_DEP_3) | instskip(NEXT) | instid1(VALU_DEP_1)
	v_and_b32_e32 v1, v7, v5
	v_mad_u32 v3, v1, 24, v3
	global_load_b64 v[2:3], v[2:3], off scope:SCOPE_SYS
	s_wait_xcnt 0x0
	s_wait_loadcnt 0x0
	global_atomic_cmpswap_b64 v[2:3], v0, v[2:5], s[2:3] offset:24 th:TH_ATOMIC_RETURN scope:SCOPE_SYS
	s_wait_loadcnt 0x0
	global_inv scope:SCOPE_SYS
	v_cmp_eq_u64_e32 vcc_lo, v[2:3], v[4:5]
	s_or_b32 s5, vcc_lo, s5
	s_wait_xcnt 0x0
	s_and_not1_b32 exec_lo, exec_lo, s5
	s_cbranch_execnz .LBB7_3
; %bb.4:
	s_or_b32 exec_lo, exec_lo, s5
.LBB7_5:
	s_delay_alu instid0(SALU_CYCLE_1)
	s_or_b32 exec_lo, exec_lo, s4
.LBB7_6:
	s_delay_alu instid0(SALU_CYCLE_1)
	s_or_b32 exec_lo, exec_lo, s1
	v_readfirstlane_b32 s4, v2
	v_mov_b32_e32 v1, 0
	v_readfirstlane_b32 s5, v3
	s_mov_b32 s1, exec_lo
	s_wait_kmcnt 0x0
	s_clause 0x1
	global_load_b64 v[8:9], v1, s[2:3] offset:40
	global_load_b128 v[4:7], v1, s[2:3]
	s_wait_loadcnt 0x1
	v_and_b32_e32 v10, s4, v8
	v_and_b32_e32 v11, s5, v9
	s_delay_alu instid0(VALU_DEP_1) | instskip(SKIP_1) | instid1(VALU_DEP_1)
	v_mul_u64_e32 v[2:3], 24, v[10:11]
	s_wait_loadcnt 0x0
	v_add_nc_u64_e32 v[8:9], v[4:5], v[2:3]
	s_and_saveexec_b32 s6, s0
	s_cbranch_execz .LBB7_8
; %bb.7:
	v_mov_b64_e32 v[2:3], 0x100000002
	v_mov_b32_e32 v0, s1
	global_store_b128 v[8:9], v[0:3], off offset:8
.LBB7_8:
	s_wait_xcnt 0x0
	s_or_b32 exec_lo, exec_lo, s6
	v_lshlrev_b64_e32 v[2:3], 12, v[10:11]
	s_mov_b32 s8, 0
	v_dual_lshlrev_b32 v0, 6, v32 :: v_dual_mov_b32 v10, 33
	s_mov_b32 s10, s8
	s_mov_b32 s11, s8
	;; [unrolled: 1-line block ×3, first 2 shown]
	s_delay_alu instid0(VALU_DEP_2)
	v_add_nc_u64_e32 v[6:7], v[6:7], v[2:3]
	v_mov_b64_e32 v[16:17], s[10:11]
	v_mov_b64_e32 v[14:15], s[8:9]
	v_dual_mov_b32 v11, v1 :: v_dual_mov_b32 v12, v1
	v_mov_b32_e32 v13, v1
	v_readfirstlane_b32 s6, v6
	v_readfirstlane_b32 s7, v7
	s_clause 0x3
	global_store_b128 v0, v[10:13], s[6:7]
	global_store_b128 v0, v[14:17], s[6:7] offset:16
	global_store_b128 v0, v[14:17], s[6:7] offset:32
	;; [unrolled: 1-line block ×3, first 2 shown]
	s_wait_xcnt 0x0
	s_and_saveexec_b32 s1, s0
	s_cbranch_execz .LBB7_16
; %bb.9:
	v_dual_mov_b32 v12, 0 :: v_dual_mov_b32 v15, s5
	s_mov_b32 s6, exec_lo
	s_clause 0x1
	global_load_b64 v[16:17], v12, s[2:3] offset:32 scope:SCOPE_SYS
	global_load_b64 v[2:3], v12, s[2:3] offset:40
	s_wait_loadcnt 0x0
	v_dual_mov_b32 v14, s4 :: v_dual_bitop2_b32 v3, s5, v3 bitop3:0x40
	v_and_b32_e32 v2, s4, v2
	s_delay_alu instid0(VALU_DEP_1) | instskip(NEXT) | instid1(VALU_DEP_1)
	v_mul_u64_e32 v[2:3], 24, v[2:3]
	v_add_nc_u64_e32 v[10:11], v[4:5], v[2:3]
	global_store_b64 v[10:11], v[16:17], off
	global_wb scope:SCOPE_SYS
	s_wait_storecnt 0x0
	s_wait_xcnt 0x0
	global_atomic_cmpswap_b64 v[4:5], v12, v[14:17], s[2:3] offset:32 th:TH_ATOMIC_RETURN scope:SCOPE_SYS
	s_wait_loadcnt 0x0
	v_cmpx_ne_u64_e64 v[4:5], v[16:17]
	s_cbranch_execz .LBB7_12
; %bb.10:
	s_mov_b32 s7, 0
.LBB7_11:                               ; =>This Inner Loop Header: Depth=1
	v_dual_mov_b32 v2, s4 :: v_dual_mov_b32 v3, s5
	s_sleep 1
	global_store_b64 v[10:11], v[4:5], off
	global_wb scope:SCOPE_SYS
	s_wait_storecnt 0x0
	s_wait_xcnt 0x0
	global_atomic_cmpswap_b64 v[2:3], v12, v[2:5], s[2:3] offset:32 th:TH_ATOMIC_RETURN scope:SCOPE_SYS
	s_wait_loadcnt 0x0
	v_cmp_eq_u64_e32 vcc_lo, v[2:3], v[4:5]
	v_mov_b64_e32 v[4:5], v[2:3]
	s_or_b32 s7, vcc_lo, s7
	s_delay_alu instid0(SALU_CYCLE_1)
	s_and_not1_b32 exec_lo, exec_lo, s7
	s_cbranch_execnz .LBB7_11
.LBB7_12:
	s_or_b32 exec_lo, exec_lo, s6
	v_mov_b32_e32 v5, 0
	s_mov_b32 s7, exec_lo
	s_mov_b32 s6, exec_lo
	v_mbcnt_lo_u32_b32 v4, s7, 0
	global_load_b64 v[2:3], v5, s[2:3] offset:16
	s_wait_xcnt 0x0
	v_cmpx_eq_u32_e32 0, v4
	s_cbranch_execz .LBB7_14
; %bb.13:
	s_bcnt1_i32_b32 s7, s7
	s_delay_alu instid0(SALU_CYCLE_1)
	v_mov_b32_e32 v4, s7
	global_wb scope:SCOPE_SYS
	s_wait_loadcnt 0x0
	s_wait_storecnt 0x0
	global_atomic_add_u64 v[2:3], v[4:5], off offset:8 scope:SCOPE_SYS
.LBB7_14:
	s_wait_xcnt 0x0
	s_or_b32 exec_lo, exec_lo, s6
	s_wait_loadcnt 0x0
	global_load_b64 v[4:5], v[2:3], off offset:16
	s_wait_loadcnt 0x0
	v_cmp_eq_u64_e32 vcc_lo, 0, v[4:5]
	s_cbranch_vccnz .LBB7_16
; %bb.15:
	global_load_b32 v2, v[2:3], off offset:24
	s_wait_xcnt 0x0
	v_mov_b32_e32 v3, 0
	s_wait_loadcnt 0x0
	v_readfirstlane_b32 s6, v2
	global_wb scope:SCOPE_SYS
	s_wait_storecnt 0x0
	global_store_b64 v[4:5], v[2:3], off scope:SCOPE_SYS
	s_and_b32 m0, s6, 0xffffff
	s_sendmsg sendmsg(MSG_INTERRUPT)
.LBB7_16:
	s_wait_xcnt 0x0
	s_or_b32 exec_lo, exec_lo, s1
	v_add_nc_u64_e32 v[2:3], v[6:7], v[0:1]
	s_branch .LBB7_20
.LBB7_17:                               ;   in Loop: Header=BB7_20 Depth=1
	s_wait_xcnt 0x0
	s_or_b32 exec_lo, exec_lo, s1
	s_delay_alu instid0(VALU_DEP_1)
	v_readfirstlane_b32 s1, v1
	s_cmp_eq_u32 s1, 0
	s_cbranch_scc1 .LBB7_19
; %bb.18:                               ;   in Loop: Header=BB7_20 Depth=1
	s_sleep 1
	s_cbranch_execnz .LBB7_20
	s_branch .LBB7_22
.LBB7_19:
	s_branch .LBB7_22
.LBB7_20:                               ; =>This Inner Loop Header: Depth=1
	v_mov_b32_e32 v1, 1
	s_and_saveexec_b32 s1, s0
	s_cbranch_execz .LBB7_17
; %bb.21:                               ;   in Loop: Header=BB7_20 Depth=1
	global_load_b32 v1, v[8:9], off offset:20 scope:SCOPE_SYS
	s_wait_loadcnt 0x0
	global_inv scope:SCOPE_SYS
	v_and_b32_e32 v1, 1, v1
	s_branch .LBB7_17
.LBB7_22:
	global_load_b64 v[2:3], v[2:3], off
	s_wait_xcnt 0x0
	s_and_saveexec_b32 s6, s0
	s_cbranch_execz .LBB7_26
; %bb.23:
	v_mov_b32_e32 v1, 0
	s_clause 0x2
	global_load_b64 v[4:5], v1, s[2:3] offset:40
	global_load_b64 v[12:13], v1, s[2:3] offset:24 scope:SCOPE_SYS
	global_load_b64 v[6:7], v1, s[2:3]
	s_wait_loadcnt 0x2
	v_readfirstlane_b32 s8, v4
	v_readfirstlane_b32 s9, v5
	s_add_nc_u64 s[0:1], s[8:9], 1
	s_delay_alu instid0(SALU_CYCLE_1) | instskip(NEXT) | instid1(SALU_CYCLE_1)
	s_add_nc_u64 s[4:5], s[0:1], s[4:5]
	s_cmp_eq_u64 s[4:5], 0
	s_cselect_b32 s1, s1, s5
	s_cselect_b32 s0, s0, s4
	v_mov_b32_e32 v11, s1
	s_and_b64 s[4:5], s[0:1], s[8:9]
	v_mov_b32_e32 v10, s0
	s_mul_u64 s[4:5], s[4:5], 24
	s_wait_loadcnt 0x0
	v_add_nc_u64_e32 v[8:9], s[4:5], v[6:7]
	global_store_b64 v[8:9], v[12:13], off
	global_wb scope:SCOPE_SYS
	s_wait_storecnt 0x0
	s_wait_xcnt 0x0
	global_atomic_cmpswap_b64 v[6:7], v1, v[10:13], s[2:3] offset:24 th:TH_ATOMIC_RETURN scope:SCOPE_SYS
	s_wait_loadcnt 0x0
	v_cmp_ne_u64_e32 vcc_lo, v[6:7], v[12:13]
	s_and_b32 exec_lo, exec_lo, vcc_lo
	s_cbranch_execz .LBB7_26
; %bb.24:
	s_mov_b32 s4, 0
.LBB7_25:                               ; =>This Inner Loop Header: Depth=1
	v_dual_mov_b32 v4, s0 :: v_dual_mov_b32 v5, s1
	s_sleep 1
	global_store_b64 v[8:9], v[6:7], off
	global_wb scope:SCOPE_SYS
	s_wait_storecnt 0x0
	s_wait_xcnt 0x0
	global_atomic_cmpswap_b64 v[4:5], v1, v[4:7], s[2:3] offset:24 th:TH_ATOMIC_RETURN scope:SCOPE_SYS
	s_wait_loadcnt 0x0
	v_cmp_eq_u64_e32 vcc_lo, v[4:5], v[6:7]
	v_mov_b64_e32 v[6:7], v[4:5]
	s_or_b32 s4, vcc_lo, s4
	s_delay_alu instid0(SALU_CYCLE_1)
	s_and_not1_b32 exec_lo, exec_lo, s4
	s_cbranch_execnz .LBB7_25
.LBB7_26:
	s_or_b32 exec_lo, exec_lo, s6
	s_get_pc_i64 s[4:5]
	s_add_nc_u64 s[4:5], s[4:5], .str@rel64+4
	s_mov_b64 s[6:7], 0
	s_cmp_lg_u64 s[4:5], 0
	s_cselect_b32 s8, -1, 0
	s_cmp_eq_u64 s[4:5], 0
	s_cbranch_scc1 .LBB7_30
; %bb.27:
	s_get_pc_i64 s[0:1]
	s_add_nc_u64 s[0:1], s[0:1], .str@rel64+3
.LBB7_28:                               ; =>This Inner Loop Header: Depth=1
	s_load_u8 s6, s[0:1], 0x1
	s_wait_xcnt 0x0
	s_add_nc_u64 s[0:1], s[0:1], 1
	s_wait_kmcnt 0x0
	s_cmp_lg_u32 s6, 0
	s_cbranch_scc1 .LBB7_28
; %bb.29:
	s_get_pc_i64 s[6:7]
	s_add_nc_u64 s[6:7], s[6:7], .str@rel64+4
	s_delay_alu instid0(SALU_CYCLE_1) | instskip(NEXT) | instid1(SALU_CYCLE_1)
	s_sub_nc_u64 s[0:1], s[0:1], s[6:7]
	s_add_nc_u64 s[6:7], s[0:1], 1
.LBB7_30:
	s_and_b32 vcc_lo, exec_lo, s8
	s_cbranch_vccz .LBB7_109
; %bb.31:
	v_mov_b64_e32 v[6:7], 0x100000002
	s_wait_loadcnt 0x0
	v_dual_mov_b32 v9, v3 :: v_dual_bitop2_b32 v8, -3, v2 bitop3:0x40
	v_mov_b32_e32 v5, 0
	s_branch .LBB7_33
.LBB7_32:                               ;   in Loop: Header=BB7_33 Depth=1
	s_or_b32 exec_lo, exec_lo, s12
	s_sub_nc_u64 s[6:7], s[6:7], s[8:9]
	s_add_nc_u64 s[4:5], s[4:5], s[8:9]
	s_cmp_lg_u64 s[6:7], 0
	s_cbranch_scc0 .LBB7_108
.LBB7_33:                               ; =>This Loop Header: Depth=1
                                        ;     Child Loop BB7_36 Depth 2
                                        ;     Child Loop BB7_43 Depth 2
	;; [unrolled: 1-line block ×11, first 2 shown]
	s_wait_loadcnt 0x0
	v_min_u64 v[10:11], s[6:7], 56
	v_cmp_gt_u64_e64 s0, s[6:7], 7
	s_and_b32 vcc_lo, exec_lo, s0
	v_readfirstlane_b32 s8, v10
	v_readfirstlane_b32 s9, v11
	s_cbranch_vccnz .LBB7_38
; %bb.34:                               ;   in Loop: Header=BB7_33 Depth=1
	v_mov_b64_e32 v[10:11], 0
	s_cmp_eq_u64 s[6:7], 0
	s_cbranch_scc1 .LBB7_37
; %bb.35:                               ;   in Loop: Header=BB7_33 Depth=1
	s_mov_b64 s[0:1], 0
	s_mov_b64 s[10:11], 0
.LBB7_36:                               ;   Parent Loop BB7_33 Depth=1
                                        ; =>  This Inner Loop Header: Depth=2
	s_wait_xcnt 0x0
	s_add_nc_u64 s[12:13], s[4:5], s[10:11]
	s_add_nc_u64 s[10:11], s[10:11], 1
	global_load_u8 v1, v5, s[12:13]
	s_cmp_lg_u32 s8, s10
	s_wait_loadcnt 0x0
	v_and_b32_e32 v4, 0xffff, v1
	s_delay_alu instid0(VALU_DEP_1) | instskip(SKIP_1) | instid1(VALU_DEP_1)
	v_lshlrev_b64_e32 v[12:13], s0, v[4:5]
	s_add_nc_u64 s[0:1], s[0:1], 8
	v_or_b32_e32 v10, v12, v10
	s_delay_alu instid0(VALU_DEP_2)
	v_or_b32_e32 v11, v13, v11
	s_cbranch_scc1 .LBB7_36
.LBB7_37:                               ;   in Loop: Header=BB7_33 Depth=1
	s_mov_b64 s[10:11], s[4:5]
	s_mov_b32 s14, 0
	s_cbranch_execz .LBB7_39
	s_branch .LBB7_40
.LBB7_38:                               ;   in Loop: Header=BB7_33 Depth=1
	s_add_nc_u64 s[10:11], s[4:5], 8
	s_mov_b32 s14, 0
.LBB7_39:                               ;   in Loop: Header=BB7_33 Depth=1
	global_load_b64 v[10:11], v5, s[4:5]
	s_add_co_i32 s14, s8, -8
.LBB7_40:                               ;   in Loop: Header=BB7_33 Depth=1
	s_delay_alu instid0(SALU_CYCLE_1)
	s_cmp_gt_u32 s14, 7
	s_cbranch_scc1 .LBB7_45
; %bb.41:                               ;   in Loop: Header=BB7_33 Depth=1
	v_mov_b64_e32 v[12:13], 0
	s_cmp_eq_u32 s14, 0
	s_cbranch_scc1 .LBB7_44
; %bb.42:                               ;   in Loop: Header=BB7_33 Depth=1
	s_mov_b64 s[0:1], 0
	s_wait_xcnt 0x0
	s_mov_b64 s[12:13], 0
.LBB7_43:                               ;   Parent Loop BB7_33 Depth=1
                                        ; =>  This Inner Loop Header: Depth=2
	s_wait_xcnt 0x0
	s_add_nc_u64 s[16:17], s[10:11], s[12:13]
	s_add_nc_u64 s[12:13], s[12:13], 1
	global_load_u8 v1, v5, s[16:17]
	s_cmp_lg_u32 s14, s12
	s_wait_loadcnt 0x0
	v_and_b32_e32 v4, 0xffff, v1
	s_delay_alu instid0(VALU_DEP_1) | instskip(SKIP_1) | instid1(VALU_DEP_1)
	v_lshlrev_b64_e32 v[14:15], s0, v[4:5]
	s_add_nc_u64 s[0:1], s[0:1], 8
	v_or_b32_e32 v12, v14, v12
	s_delay_alu instid0(VALU_DEP_2)
	v_or_b32_e32 v13, v15, v13
	s_cbranch_scc1 .LBB7_43
.LBB7_44:                               ;   in Loop: Header=BB7_33 Depth=1
	s_wait_xcnt 0x0
	s_mov_b64 s[0:1], s[10:11]
	s_mov_b32 s15, 0
	s_cbranch_execz .LBB7_46
	s_branch .LBB7_47
.LBB7_45:                               ;   in Loop: Header=BB7_33 Depth=1
	s_add_nc_u64 s[0:1], s[10:11], 8
	s_wait_xcnt 0x0
                                        ; implicit-def: $vgpr12_vgpr13
	s_mov_b32 s15, 0
.LBB7_46:                               ;   in Loop: Header=BB7_33 Depth=1
	global_load_b64 v[12:13], v5, s[10:11]
	s_add_co_i32 s15, s14, -8
.LBB7_47:                               ;   in Loop: Header=BB7_33 Depth=1
	s_delay_alu instid0(SALU_CYCLE_1)
	s_cmp_gt_u32 s15, 7
	s_cbranch_scc1 .LBB7_52
; %bb.48:                               ;   in Loop: Header=BB7_33 Depth=1
	v_mov_b64_e32 v[14:15], 0
	s_cmp_eq_u32 s15, 0
	s_cbranch_scc1 .LBB7_51
; %bb.49:                               ;   in Loop: Header=BB7_33 Depth=1
	s_wait_xcnt 0x0
	s_mov_b64 s[10:11], 0
	s_mov_b64 s[12:13], 0
.LBB7_50:                               ;   Parent Loop BB7_33 Depth=1
                                        ; =>  This Inner Loop Header: Depth=2
	s_wait_xcnt 0x0
	s_add_nc_u64 s[16:17], s[0:1], s[12:13]
	s_add_nc_u64 s[12:13], s[12:13], 1
	global_load_u8 v1, v5, s[16:17]
	s_cmp_lg_u32 s15, s12
	s_wait_loadcnt 0x0
	v_and_b32_e32 v4, 0xffff, v1
	s_delay_alu instid0(VALU_DEP_1) | instskip(SKIP_1) | instid1(VALU_DEP_1)
	v_lshlrev_b64_e32 v[16:17], s10, v[4:5]
	s_add_nc_u64 s[10:11], s[10:11], 8
	v_or_b32_e32 v14, v16, v14
	s_delay_alu instid0(VALU_DEP_2)
	v_or_b32_e32 v15, v17, v15
	s_cbranch_scc1 .LBB7_50
.LBB7_51:                               ;   in Loop: Header=BB7_33 Depth=1
	s_wait_xcnt 0x0
	s_mov_b64 s[10:11], s[0:1]
	s_mov_b32 s14, 0
	s_cbranch_execz .LBB7_53
	s_branch .LBB7_54
.LBB7_52:                               ;   in Loop: Header=BB7_33 Depth=1
	s_wait_xcnt 0x0
	s_add_nc_u64 s[10:11], s[0:1], 8
	s_mov_b32 s14, 0
.LBB7_53:                               ;   in Loop: Header=BB7_33 Depth=1
	global_load_b64 v[14:15], v5, s[0:1]
	s_add_co_i32 s14, s15, -8
.LBB7_54:                               ;   in Loop: Header=BB7_33 Depth=1
	s_delay_alu instid0(SALU_CYCLE_1)
	s_cmp_gt_u32 s14, 7
	s_cbranch_scc1 .LBB7_59
; %bb.55:                               ;   in Loop: Header=BB7_33 Depth=1
	v_mov_b64_e32 v[16:17], 0
	s_cmp_eq_u32 s14, 0
	s_cbranch_scc1 .LBB7_58
; %bb.56:                               ;   in Loop: Header=BB7_33 Depth=1
	s_wait_xcnt 0x0
	s_mov_b64 s[0:1], 0
	s_mov_b64 s[12:13], 0
.LBB7_57:                               ;   Parent Loop BB7_33 Depth=1
                                        ; =>  This Inner Loop Header: Depth=2
	s_wait_xcnt 0x0
	s_add_nc_u64 s[16:17], s[10:11], s[12:13]
	s_add_nc_u64 s[12:13], s[12:13], 1
	global_load_u8 v1, v5, s[16:17]
	s_cmp_lg_u32 s14, s12
	s_wait_loadcnt 0x0
	v_and_b32_e32 v4, 0xffff, v1
	s_delay_alu instid0(VALU_DEP_1) | instskip(SKIP_1) | instid1(VALU_DEP_1)
	v_lshlrev_b64_e32 v[18:19], s0, v[4:5]
	s_add_nc_u64 s[0:1], s[0:1], 8
	v_or_b32_e32 v16, v18, v16
	s_delay_alu instid0(VALU_DEP_2)
	v_or_b32_e32 v17, v19, v17
	s_cbranch_scc1 .LBB7_57
.LBB7_58:                               ;   in Loop: Header=BB7_33 Depth=1
	s_wait_xcnt 0x0
	s_mov_b64 s[0:1], s[10:11]
	s_mov_b32 s15, 0
	s_cbranch_execz .LBB7_60
	s_branch .LBB7_61
.LBB7_59:                               ;   in Loop: Header=BB7_33 Depth=1
	s_wait_xcnt 0x0
	s_add_nc_u64 s[0:1], s[10:11], 8
                                        ; implicit-def: $vgpr16_vgpr17
	s_mov_b32 s15, 0
.LBB7_60:                               ;   in Loop: Header=BB7_33 Depth=1
	global_load_b64 v[16:17], v5, s[10:11]
	s_add_co_i32 s15, s14, -8
.LBB7_61:                               ;   in Loop: Header=BB7_33 Depth=1
	s_delay_alu instid0(SALU_CYCLE_1)
	s_cmp_gt_u32 s15, 7
	s_cbranch_scc1 .LBB7_66
; %bb.62:                               ;   in Loop: Header=BB7_33 Depth=1
	v_mov_b64_e32 v[18:19], 0
	s_cmp_eq_u32 s15, 0
	s_cbranch_scc1 .LBB7_65
; %bb.63:                               ;   in Loop: Header=BB7_33 Depth=1
	s_wait_xcnt 0x0
	s_mov_b64 s[10:11], 0
	s_mov_b64 s[12:13], 0
.LBB7_64:                               ;   Parent Loop BB7_33 Depth=1
                                        ; =>  This Inner Loop Header: Depth=2
	s_wait_xcnt 0x0
	s_add_nc_u64 s[16:17], s[0:1], s[12:13]
	s_add_nc_u64 s[12:13], s[12:13], 1
	global_load_u8 v1, v5, s[16:17]
	s_cmp_lg_u32 s15, s12
	s_wait_loadcnt 0x0
	v_and_b32_e32 v4, 0xffff, v1
	s_delay_alu instid0(VALU_DEP_1) | instskip(SKIP_1) | instid1(VALU_DEP_1)
	v_lshlrev_b64_e32 v[20:21], s10, v[4:5]
	s_add_nc_u64 s[10:11], s[10:11], 8
	v_or_b32_e32 v18, v20, v18
	s_delay_alu instid0(VALU_DEP_2)
	v_or_b32_e32 v19, v21, v19
	s_cbranch_scc1 .LBB7_64
.LBB7_65:                               ;   in Loop: Header=BB7_33 Depth=1
	s_wait_xcnt 0x0
	s_mov_b64 s[10:11], s[0:1]
	s_mov_b32 s14, 0
	s_cbranch_execz .LBB7_67
	s_branch .LBB7_68
.LBB7_66:                               ;   in Loop: Header=BB7_33 Depth=1
	s_wait_xcnt 0x0
	s_add_nc_u64 s[10:11], s[0:1], 8
	s_mov_b32 s14, 0
.LBB7_67:                               ;   in Loop: Header=BB7_33 Depth=1
	global_load_b64 v[18:19], v5, s[0:1]
	s_add_co_i32 s14, s15, -8
.LBB7_68:                               ;   in Loop: Header=BB7_33 Depth=1
	s_delay_alu instid0(SALU_CYCLE_1)
	s_cmp_gt_u32 s14, 7
	s_cbranch_scc1 .LBB7_73
; %bb.69:                               ;   in Loop: Header=BB7_33 Depth=1
	v_mov_b64_e32 v[20:21], 0
	s_cmp_eq_u32 s14, 0
	s_cbranch_scc1 .LBB7_72
; %bb.70:                               ;   in Loop: Header=BB7_33 Depth=1
	s_wait_xcnt 0x0
	s_mov_b64 s[0:1], 0
	s_mov_b64 s[12:13], 0
.LBB7_71:                               ;   Parent Loop BB7_33 Depth=1
                                        ; =>  This Inner Loop Header: Depth=2
	s_wait_xcnt 0x0
	s_add_nc_u64 s[16:17], s[10:11], s[12:13]
	s_add_nc_u64 s[12:13], s[12:13], 1
	global_load_u8 v1, v5, s[16:17]
	s_cmp_lg_u32 s14, s12
	s_wait_loadcnt 0x0
	v_and_b32_e32 v4, 0xffff, v1
	s_delay_alu instid0(VALU_DEP_1) | instskip(SKIP_1) | instid1(VALU_DEP_1)
	v_lshlrev_b64_e32 v[22:23], s0, v[4:5]
	s_add_nc_u64 s[0:1], s[0:1], 8
	v_or_b32_e32 v20, v22, v20
	s_delay_alu instid0(VALU_DEP_2)
	v_or_b32_e32 v21, v23, v21
	s_cbranch_scc1 .LBB7_71
.LBB7_72:                               ;   in Loop: Header=BB7_33 Depth=1
	s_wait_xcnt 0x0
	s_mov_b64 s[0:1], s[10:11]
	s_mov_b32 s15, 0
	s_cbranch_execz .LBB7_74
	s_branch .LBB7_75
.LBB7_73:                               ;   in Loop: Header=BB7_33 Depth=1
	s_wait_xcnt 0x0
	s_add_nc_u64 s[0:1], s[10:11], 8
                                        ; implicit-def: $vgpr20_vgpr21
	s_mov_b32 s15, 0
.LBB7_74:                               ;   in Loop: Header=BB7_33 Depth=1
	global_load_b64 v[20:21], v5, s[10:11]
	s_add_co_i32 s15, s14, -8
.LBB7_75:                               ;   in Loop: Header=BB7_33 Depth=1
	s_delay_alu instid0(SALU_CYCLE_1)
	s_cmp_gt_u32 s15, 7
	s_cbranch_scc1 .LBB7_80
; %bb.76:                               ;   in Loop: Header=BB7_33 Depth=1
	v_mov_b64_e32 v[22:23], 0
	s_cmp_eq_u32 s15, 0
	s_cbranch_scc1 .LBB7_79
; %bb.77:                               ;   in Loop: Header=BB7_33 Depth=1
	s_wait_xcnt 0x0
	s_mov_b64 s[10:11], 0
	s_mov_b64 s[12:13], s[0:1]
.LBB7_78:                               ;   Parent Loop BB7_33 Depth=1
                                        ; =>  This Inner Loop Header: Depth=2
	global_load_u8 v1, v5, s[12:13]
	s_add_co_i32 s15, s15, -1
	s_wait_xcnt 0x0
	s_add_nc_u64 s[12:13], s[12:13], 1
	s_cmp_lg_u32 s15, 0
	s_wait_loadcnt 0x0
	v_and_b32_e32 v4, 0xffff, v1
	s_delay_alu instid0(VALU_DEP_1) | instskip(SKIP_1) | instid1(VALU_DEP_1)
	v_lshlrev_b64_e32 v[24:25], s10, v[4:5]
	s_add_nc_u64 s[10:11], s[10:11], 8
	v_or_b32_e32 v22, v24, v22
	s_delay_alu instid0(VALU_DEP_2)
	v_or_b32_e32 v23, v25, v23
	s_cbranch_scc1 .LBB7_78
.LBB7_79:                               ;   in Loop: Header=BB7_33 Depth=1
	s_wait_xcnt 0x0
	s_cbranch_execz .LBB7_81
	s_branch .LBB7_82
.LBB7_80:                               ;   in Loop: Header=BB7_33 Depth=1
	s_wait_xcnt 0x0
.LBB7_81:                               ;   in Loop: Header=BB7_33 Depth=1
	global_load_b64 v[22:23], v5, s[0:1]
.LBB7_82:                               ;   in Loop: Header=BB7_33 Depth=1
	s_wait_xcnt 0x0
	v_readfirstlane_b32 s0, v32
	v_mov_b64_e32 v[28:29], 0
	s_delay_alu instid0(VALU_DEP_2)
	v_cmp_eq_u32_e64 s0, s0, v32
	s_and_saveexec_b32 s1, s0
	s_cbranch_execz .LBB7_88
; %bb.83:                               ;   in Loop: Header=BB7_33 Depth=1
	global_load_b64 v[26:27], v5, s[2:3] offset:24 scope:SCOPE_SYS
	s_wait_loadcnt 0x0
	global_inv scope:SCOPE_SYS
	s_clause 0x1
	global_load_b64 v[24:25], v5, s[2:3] offset:40
	global_load_b64 v[28:29], v5, s[2:3]
	s_mov_b32 s10, exec_lo
	s_wait_loadcnt 0x1
	v_and_b32_e32 v24, v24, v26
	v_and_b32_e32 v25, v25, v27
	s_delay_alu instid0(VALU_DEP_1) | instskip(SKIP_1) | instid1(VALU_DEP_1)
	v_mul_u64_e32 v[24:25], 24, v[24:25]
	s_wait_loadcnt 0x0
	v_add_nc_u64_e32 v[24:25], v[28:29], v[24:25]
	global_load_b64 v[24:25], v[24:25], off scope:SCOPE_SYS
	s_wait_xcnt 0x0
	s_wait_loadcnt 0x0
	global_atomic_cmpswap_b64 v[28:29], v5, v[24:27], s[2:3] offset:24 th:TH_ATOMIC_RETURN scope:SCOPE_SYS
	s_wait_loadcnt 0x0
	global_inv scope:SCOPE_SYS
	s_wait_xcnt 0x0
	v_cmpx_ne_u64_e64 v[28:29], v[26:27]
	s_cbranch_execz .LBB7_87
; %bb.84:                               ;   in Loop: Header=BB7_33 Depth=1
	s_mov_b32 s11, 0
.LBB7_85:                               ;   Parent Loop BB7_33 Depth=1
                                        ; =>  This Inner Loop Header: Depth=2
	s_sleep 1
	s_clause 0x1
	global_load_b64 v[24:25], v5, s[2:3] offset:40
	global_load_b64 v[30:31], v5, s[2:3]
	v_mov_b64_e32 v[26:27], v[28:29]
	s_wait_loadcnt 0x1
	s_delay_alu instid0(VALU_DEP_1) | instskip(SKIP_1) | instid1(VALU_DEP_1)
	v_and_b32_e32 v1, v24, v26
	s_wait_loadcnt 0x0
	v_mad_nc_u64_u32 v[28:29], v1, 24, v[30:31]
	s_delay_alu instid0(VALU_DEP_3) | instskip(NEXT) | instid1(VALU_DEP_1)
	v_and_b32_e32 v1, v25, v27
	v_mad_u32 v29, v1, 24, v29
	global_load_b64 v[24:25], v[28:29], off scope:SCOPE_SYS
	s_wait_xcnt 0x0
	s_wait_loadcnt 0x0
	global_atomic_cmpswap_b64 v[28:29], v5, v[24:27], s[2:3] offset:24 th:TH_ATOMIC_RETURN scope:SCOPE_SYS
	s_wait_loadcnt 0x0
	global_inv scope:SCOPE_SYS
	v_cmp_eq_u64_e32 vcc_lo, v[28:29], v[26:27]
	s_or_b32 s11, vcc_lo, s11
	s_wait_xcnt 0x0
	s_and_not1_b32 exec_lo, exec_lo, s11
	s_cbranch_execnz .LBB7_85
; %bb.86:                               ;   in Loop: Header=BB7_33 Depth=1
	s_or_b32 exec_lo, exec_lo, s11
.LBB7_87:                               ;   in Loop: Header=BB7_33 Depth=1
	s_delay_alu instid0(SALU_CYCLE_1)
	s_or_b32 exec_lo, exec_lo, s10
.LBB7_88:                               ;   in Loop: Header=BB7_33 Depth=1
	s_delay_alu instid0(SALU_CYCLE_1)
	s_or_b32 exec_lo, exec_lo, s1
	s_clause 0x1
	global_load_b64 v[30:31], v5, s[2:3] offset:40
	global_load_b128 v[24:27], v5, s[2:3]
	v_readfirstlane_b32 s10, v28
	v_readfirstlane_b32 s11, v29
	s_mov_b32 s1, exec_lo
	s_wait_loadcnt 0x1
	v_and_b32_e32 v30, s10, v30
	v_and_b32_e32 v31, s11, v31
	s_delay_alu instid0(VALU_DEP_1) | instskip(SKIP_1) | instid1(VALU_DEP_1)
	v_mul_u64_e32 v[28:29], 24, v[30:31]
	s_wait_loadcnt 0x0
	v_add_nc_u64_e32 v[28:29], v[24:25], v[28:29]
	s_wait_xcnt 0x0
	s_and_saveexec_b32 s12, s0
	s_cbranch_execz .LBB7_90
; %bb.89:                               ;   in Loop: Header=BB7_33 Depth=1
	v_mov_b32_e32 v4, s1
	global_store_b128 v[28:29], v[4:7], off offset:8
.LBB7_90:                               ;   in Loop: Header=BB7_33 Depth=1
	s_wait_xcnt 0x0
	s_or_b32 exec_lo, exec_lo, s12
	v_cmp_gt_u64_e64 s1, s[6:7], 56
	v_lshlrev_b64_e32 v[30:31], 12, v[30:31]
	v_and_b32_e32 v1, 0xffffff1f, v8
	s_and_b32 s1, s1, exec_lo
	s_delay_alu instid0(VALU_DEP_2) | instskip(SKIP_4) | instid1(VALU_DEP_2)
	v_add_nc_u64_e32 v[26:27], v[26:27], v[30:31]
	s_cselect_b32 s1, 0, 2
	s_lshl_b32 s12, s8, 2
	v_or_b32_e32 v1, s1, v1
	s_add_co_i32 s1, s12, 28
	v_readfirstlane_b32 s12, v26
	s_delay_alu instid0(VALU_DEP_3) | instskip(NEXT) | instid1(VALU_DEP_3)
	v_readfirstlane_b32 s13, v27
	v_and_or_b32 v8, 0x1e0, s1, v1
	s_clause 0x3
	global_store_b128 v0, v[8:11], s[12:13]
	global_store_b128 v0, v[12:15], s[12:13] offset:16
	global_store_b128 v0, v[16:19], s[12:13] offset:32
	;; [unrolled: 1-line block ×3, first 2 shown]
	s_wait_xcnt 0x0
	s_and_saveexec_b32 s1, s0
	s_cbranch_execz .LBB7_98
; %bb.91:                               ;   in Loop: Header=BB7_33 Depth=1
	s_clause 0x1
	global_load_b64 v[16:17], v5, s[2:3] offset:32 scope:SCOPE_SYS
	global_load_b64 v[8:9], v5, s[2:3] offset:40
	s_mov_b32 s12, exec_lo
	v_dual_mov_b32 v14, s10 :: v_dual_mov_b32 v15, s11
	s_wait_loadcnt 0x0
	v_and_b32_e32 v9, s11, v9
	v_and_b32_e32 v8, s10, v8
	s_delay_alu instid0(VALU_DEP_1) | instskip(NEXT) | instid1(VALU_DEP_1)
	v_mul_u64_e32 v[8:9], 24, v[8:9]
	v_add_nc_u64_e32 v[12:13], v[24:25], v[8:9]
	global_store_b64 v[12:13], v[16:17], off
	global_wb scope:SCOPE_SYS
	s_wait_storecnt 0x0
	s_wait_xcnt 0x0
	global_atomic_cmpswap_b64 v[10:11], v5, v[14:17], s[2:3] offset:32 th:TH_ATOMIC_RETURN scope:SCOPE_SYS
	s_wait_loadcnt 0x0
	v_cmpx_ne_u64_e64 v[10:11], v[16:17]
	s_cbranch_execz .LBB7_94
; %bb.92:                               ;   in Loop: Header=BB7_33 Depth=1
	s_mov_b32 s13, 0
.LBB7_93:                               ;   Parent Loop BB7_33 Depth=1
                                        ; =>  This Inner Loop Header: Depth=2
	v_dual_mov_b32 v8, s10 :: v_dual_mov_b32 v9, s11
	s_sleep 1
	global_store_b64 v[12:13], v[10:11], off
	global_wb scope:SCOPE_SYS
	s_wait_storecnt 0x0
	s_wait_xcnt 0x0
	global_atomic_cmpswap_b64 v[8:9], v5, v[8:11], s[2:3] offset:32 th:TH_ATOMIC_RETURN scope:SCOPE_SYS
	s_wait_loadcnt 0x0
	v_cmp_eq_u64_e32 vcc_lo, v[8:9], v[10:11]
	v_mov_b64_e32 v[10:11], v[8:9]
	s_or_b32 s13, vcc_lo, s13
	s_delay_alu instid0(SALU_CYCLE_1)
	s_and_not1_b32 exec_lo, exec_lo, s13
	s_cbranch_execnz .LBB7_93
.LBB7_94:                               ;   in Loop: Header=BB7_33 Depth=1
	s_or_b32 exec_lo, exec_lo, s12
	global_load_b64 v[8:9], v5, s[2:3] offset:16
	s_mov_b32 s13, exec_lo
	s_mov_b32 s12, exec_lo
	v_mbcnt_lo_u32_b32 v1, s13, 0
	s_wait_xcnt 0x0
	s_delay_alu instid0(VALU_DEP_1)
	v_cmpx_eq_u32_e32 0, v1
	s_cbranch_execz .LBB7_96
; %bb.95:                               ;   in Loop: Header=BB7_33 Depth=1
	s_bcnt1_i32_b32 s13, s13
	s_delay_alu instid0(SALU_CYCLE_1)
	v_mov_b32_e32 v4, s13
	global_wb scope:SCOPE_SYS
	s_wait_loadcnt 0x0
	s_wait_storecnt 0x0
	global_atomic_add_u64 v[8:9], v[4:5], off offset:8 scope:SCOPE_SYS
.LBB7_96:                               ;   in Loop: Header=BB7_33 Depth=1
	s_wait_xcnt 0x0
	s_or_b32 exec_lo, exec_lo, s12
	s_wait_loadcnt 0x0
	global_load_b64 v[10:11], v[8:9], off offset:16
	s_wait_loadcnt 0x0
	v_cmp_eq_u64_e32 vcc_lo, 0, v[10:11]
	s_cbranch_vccnz .LBB7_98
; %bb.97:                               ;   in Loop: Header=BB7_33 Depth=1
	global_load_b32 v4, v[8:9], off offset:24
	s_wait_loadcnt 0x0
	v_readfirstlane_b32 s12, v4
	global_wb scope:SCOPE_SYS
	s_wait_storecnt 0x0
	s_wait_xcnt 0x0
	global_store_b64 v[10:11], v[4:5], off scope:SCOPE_SYS
	s_and_b32 m0, s12, 0xffffff
	s_sendmsg sendmsg(MSG_INTERRUPT)
.LBB7_98:                               ;   in Loop: Header=BB7_33 Depth=1
	s_wait_xcnt 0x0
	s_or_b32 exec_lo, exec_lo, s1
	v_mov_b32_e32 v1, v5
	s_delay_alu instid0(VALU_DEP_1)
	v_add_nc_u64_e32 v[8:9], v[26:27], v[0:1]
	s_branch .LBB7_102
.LBB7_99:                               ;   in Loop: Header=BB7_102 Depth=2
	s_wait_xcnt 0x0
	s_or_b32 exec_lo, exec_lo, s1
	s_delay_alu instid0(VALU_DEP_1)
	v_readfirstlane_b32 s1, v1
	s_cmp_eq_u32 s1, 0
	s_cbranch_scc1 .LBB7_101
; %bb.100:                              ;   in Loop: Header=BB7_102 Depth=2
	s_sleep 1
	s_cbranch_execnz .LBB7_102
	s_branch .LBB7_104
.LBB7_101:                              ;   in Loop: Header=BB7_33 Depth=1
	s_branch .LBB7_104
.LBB7_102:                              ;   Parent Loop BB7_33 Depth=1
                                        ; =>  This Inner Loop Header: Depth=2
	v_mov_b32_e32 v1, 1
	s_and_saveexec_b32 s1, s0
	s_cbranch_execz .LBB7_99
; %bb.103:                              ;   in Loop: Header=BB7_102 Depth=2
	global_load_b32 v1, v[28:29], off offset:20 scope:SCOPE_SYS
	s_wait_loadcnt 0x0
	global_inv scope:SCOPE_SYS
	v_and_b32_e32 v1, 1, v1
	s_branch .LBB7_99
.LBB7_104:                              ;   in Loop: Header=BB7_33 Depth=1
	global_load_b128 v[8:11], v[8:9], off
	s_wait_xcnt 0x0
	s_and_saveexec_b32 s12, s0
	s_cbranch_execz .LBB7_32
; %bb.105:                              ;   in Loop: Header=BB7_33 Depth=1
	s_wait_loadcnt 0x0
	s_clause 0x2
	global_load_b64 v[10:11], v5, s[2:3] offset:40
	global_load_b64 v[18:19], v5, s[2:3] offset:24 scope:SCOPE_SYS
	global_load_b64 v[12:13], v5, s[2:3]
	s_wait_loadcnt 0x2
	v_readfirstlane_b32 s14, v10
	v_readfirstlane_b32 s15, v11
	s_add_nc_u64 s[0:1], s[14:15], 1
	s_delay_alu instid0(SALU_CYCLE_1) | instskip(NEXT) | instid1(SALU_CYCLE_1)
	s_add_nc_u64 s[10:11], s[0:1], s[10:11]
	s_cmp_eq_u64 s[10:11], 0
	s_cselect_b32 s1, s1, s11
	s_cselect_b32 s0, s0, s10
	s_delay_alu instid0(SALU_CYCLE_1) | instskip(SKIP_1) | instid1(SALU_CYCLE_1)
	v_dual_mov_b32 v17, s1 :: v_dual_mov_b32 v16, s0
	s_and_b64 s[10:11], s[0:1], s[14:15]
	s_mul_u64 s[10:11], s[10:11], 24
	s_wait_loadcnt 0x0
	v_add_nc_u64_e32 v[14:15], s[10:11], v[12:13]
	global_store_b64 v[14:15], v[18:19], off
	global_wb scope:SCOPE_SYS
	s_wait_storecnt 0x0
	s_wait_xcnt 0x0
	global_atomic_cmpswap_b64 v[12:13], v5, v[16:19], s[2:3] offset:24 th:TH_ATOMIC_RETURN scope:SCOPE_SYS
	s_wait_loadcnt 0x0
	v_cmp_ne_u64_e32 vcc_lo, v[12:13], v[18:19]
	s_and_b32 exec_lo, exec_lo, vcc_lo
	s_cbranch_execz .LBB7_32
; %bb.106:                              ;   in Loop: Header=BB7_33 Depth=1
	s_mov_b32 s10, 0
.LBB7_107:                              ;   Parent Loop BB7_33 Depth=1
                                        ; =>  This Inner Loop Header: Depth=2
	v_dual_mov_b32 v10, s0 :: v_dual_mov_b32 v11, s1
	s_sleep 1
	global_store_b64 v[14:15], v[12:13], off
	global_wb scope:SCOPE_SYS
	s_wait_storecnt 0x0
	s_wait_xcnt 0x0
	global_atomic_cmpswap_b64 v[10:11], v5, v[10:13], s[2:3] offset:24 th:TH_ATOMIC_RETURN scope:SCOPE_SYS
	s_wait_loadcnt 0x0
	v_cmp_eq_u64_e32 vcc_lo, v[10:11], v[12:13]
	v_mov_b64_e32 v[12:13], v[10:11]
	s_or_b32 s10, vcc_lo, s10
	s_delay_alu instid0(SALU_CYCLE_1)
	s_and_not1_b32 exec_lo, exec_lo, s10
	s_cbranch_execnz .LBB7_107
	s_branch .LBB7_32
.LBB7_108:
	s_branch .LBB7_136
.LBB7_109:
	s_cbranch_execz .LBB7_136
; %bb.110:
	v_readfirstlane_b32 s0, v32
	s_wait_loadcnt 0x0
	v_mov_b64_e32 v[10:11], 0
	s_delay_alu instid0(VALU_DEP_2)
	v_cmp_eq_u32_e64 s0, s0, v32
	s_and_saveexec_b32 s1, s0
	s_cbranch_execz .LBB7_116
; %bb.111:
	v_mov_b32_e32 v1, 0
	s_mov_b32 s4, exec_lo
	global_load_b64 v[6:7], v1, s[2:3] offset:24 scope:SCOPE_SYS
	s_wait_loadcnt 0x0
	global_inv scope:SCOPE_SYS
	s_clause 0x1
	global_load_b64 v[4:5], v1, s[2:3] offset:40
	global_load_b64 v[8:9], v1, s[2:3]
	s_wait_loadcnt 0x1
	v_and_b32_e32 v4, v4, v6
	v_and_b32_e32 v5, v5, v7
	s_delay_alu instid0(VALU_DEP_1) | instskip(SKIP_1) | instid1(VALU_DEP_1)
	v_mul_u64_e32 v[4:5], 24, v[4:5]
	s_wait_loadcnt 0x0
	v_add_nc_u64_e32 v[4:5], v[8:9], v[4:5]
	global_load_b64 v[4:5], v[4:5], off scope:SCOPE_SYS
	s_wait_xcnt 0x0
	s_wait_loadcnt 0x0
	global_atomic_cmpswap_b64 v[10:11], v1, v[4:7], s[2:3] offset:24 th:TH_ATOMIC_RETURN scope:SCOPE_SYS
	s_wait_loadcnt 0x0
	global_inv scope:SCOPE_SYS
	s_wait_xcnt 0x0
	v_cmpx_ne_u64_e64 v[10:11], v[6:7]
	s_cbranch_execz .LBB7_115
; %bb.112:
	s_mov_b32 s5, 0
.LBB7_113:                              ; =>This Inner Loop Header: Depth=1
	s_sleep 1
	s_clause 0x1
	global_load_b64 v[4:5], v1, s[2:3] offset:40
	global_load_b64 v[8:9], v1, s[2:3]
	v_mov_b64_e32 v[6:7], v[10:11]
	s_wait_loadcnt 0x1
	s_delay_alu instid0(VALU_DEP_1) | instskip(SKIP_1) | instid1(VALU_DEP_1)
	v_and_b32_e32 v4, v4, v6
	s_wait_loadcnt 0x0
	v_mad_nc_u64_u32 v[8:9], v4, 24, v[8:9]
	s_delay_alu instid0(VALU_DEP_3) | instskip(NEXT) | instid1(VALU_DEP_1)
	v_and_b32_e32 v4, v5, v7
	v_mad_u32 v9, v4, 24, v9
	global_load_b64 v[4:5], v[8:9], off scope:SCOPE_SYS
	s_wait_xcnt 0x0
	s_wait_loadcnt 0x0
	global_atomic_cmpswap_b64 v[10:11], v1, v[4:7], s[2:3] offset:24 th:TH_ATOMIC_RETURN scope:SCOPE_SYS
	s_wait_loadcnt 0x0
	global_inv scope:SCOPE_SYS
	v_cmp_eq_u64_e32 vcc_lo, v[10:11], v[6:7]
	s_or_b32 s5, vcc_lo, s5
	s_wait_xcnt 0x0
	s_and_not1_b32 exec_lo, exec_lo, s5
	s_cbranch_execnz .LBB7_113
; %bb.114:
	s_or_b32 exec_lo, exec_lo, s5
.LBB7_115:
	s_delay_alu instid0(SALU_CYCLE_1)
	s_or_b32 exec_lo, exec_lo, s4
.LBB7_116:
	s_delay_alu instid0(SALU_CYCLE_1)
	s_or_b32 exec_lo, exec_lo, s1
	v_readfirstlane_b32 s4, v10
	v_mov_b32_e32 v4, 0
	v_readfirstlane_b32 s5, v11
	s_mov_b32 s1, exec_lo
	s_clause 0x1
	global_load_b64 v[12:13], v4, s[2:3] offset:40
	global_load_b128 v[6:9], v4, s[2:3]
	s_wait_loadcnt 0x1
	v_and_b32_e32 v12, s4, v12
	v_and_b32_e32 v13, s5, v13
	s_delay_alu instid0(VALU_DEP_1) | instskip(SKIP_1) | instid1(VALU_DEP_1)
	v_mul_u64_e32 v[10:11], 24, v[12:13]
	s_wait_loadcnt 0x0
	v_add_nc_u64_e32 v[10:11], v[6:7], v[10:11]
	s_wait_xcnt 0x0
	s_and_saveexec_b32 s6, s0
	s_cbranch_execz .LBB7_118
; %bb.117:
	v_mov_b64_e32 v[16:17], 0x100000002
	v_dual_mov_b32 v14, s1 :: v_dual_mov_b32 v15, v4
	global_store_b128 v[10:11], v[14:17], off offset:8
.LBB7_118:
	s_wait_xcnt 0x0
	s_or_b32 exec_lo, exec_lo, s6
	v_lshlrev_b64_e32 v[12:13], 12, v[12:13]
	s_mov_b32 s8, 0
	v_and_or_b32 v2, 0xffffff1d, v2, 34
	s_mov_b32 s10, s8
	s_mov_b32 s11, s8
	;; [unrolled: 1-line block ×3, first 2 shown]
	v_mov_b32_e32 v5, v4
	v_add_nc_u64_e32 v[8:9], v[8:9], v[12:13]
	v_mov_b64_e32 v[14:15], s[10:11]
	v_mov_b64_e32 v[12:13], s[8:9]
	s_delay_alu instid0(VALU_DEP_3) | instskip(NEXT) | instid1(VALU_DEP_4)
	v_readfirstlane_b32 s6, v8
	v_readfirstlane_b32 s7, v9
	s_clause 0x3
	global_store_b128 v0, v[2:5], s[6:7]
	global_store_b128 v0, v[12:15], s[6:7] offset:16
	global_store_b128 v0, v[12:15], s[6:7] offset:32
	;; [unrolled: 1-line block ×3, first 2 shown]
	s_wait_xcnt 0x0
	s_and_saveexec_b32 s1, s0
	s_cbranch_execz .LBB7_126
; %bb.119:
	v_dual_mov_b32 v8, 0 :: v_dual_mov_b32 v13, s5
	s_mov_b32 s6, exec_lo
	s_clause 0x1
	global_load_b64 v[14:15], v8, s[2:3] offset:32 scope:SCOPE_SYS
	global_load_b64 v[0:1], v8, s[2:3] offset:40
	s_wait_loadcnt 0x0
	v_dual_mov_b32 v12, s4 :: v_dual_bitop2_b32 v1, s5, v1 bitop3:0x40
	v_and_b32_e32 v0, s4, v0
	s_delay_alu instid0(VALU_DEP_1) | instskip(NEXT) | instid1(VALU_DEP_1)
	v_mul_u64_e32 v[0:1], 24, v[0:1]
	v_add_nc_u64_e32 v[4:5], v[6:7], v[0:1]
	global_store_b64 v[4:5], v[14:15], off
	global_wb scope:SCOPE_SYS
	s_wait_storecnt 0x0
	s_wait_xcnt 0x0
	global_atomic_cmpswap_b64 v[2:3], v8, v[12:15], s[2:3] offset:32 th:TH_ATOMIC_RETURN scope:SCOPE_SYS
	s_wait_loadcnt 0x0
	v_cmpx_ne_u64_e64 v[2:3], v[14:15]
	s_cbranch_execz .LBB7_122
; %bb.120:
	s_mov_b32 s7, 0
.LBB7_121:                              ; =>This Inner Loop Header: Depth=1
	v_dual_mov_b32 v0, s4 :: v_dual_mov_b32 v1, s5
	s_sleep 1
	global_store_b64 v[4:5], v[2:3], off
	global_wb scope:SCOPE_SYS
	s_wait_storecnt 0x0
	s_wait_xcnt 0x0
	global_atomic_cmpswap_b64 v[0:1], v8, v[0:3], s[2:3] offset:32 th:TH_ATOMIC_RETURN scope:SCOPE_SYS
	s_wait_loadcnt 0x0
	v_cmp_eq_u64_e32 vcc_lo, v[0:1], v[2:3]
	v_mov_b64_e32 v[2:3], v[0:1]
	s_or_b32 s7, vcc_lo, s7
	s_delay_alu instid0(SALU_CYCLE_1)
	s_and_not1_b32 exec_lo, exec_lo, s7
	s_cbranch_execnz .LBB7_121
.LBB7_122:
	s_or_b32 exec_lo, exec_lo, s6
	v_mov_b32_e32 v3, 0
	s_mov_b32 s7, exec_lo
	s_mov_b32 s6, exec_lo
	v_mbcnt_lo_u32_b32 v2, s7, 0
	global_load_b64 v[0:1], v3, s[2:3] offset:16
	s_wait_xcnt 0x0
	v_cmpx_eq_u32_e32 0, v2
	s_cbranch_execz .LBB7_124
; %bb.123:
	s_bcnt1_i32_b32 s7, s7
	s_delay_alu instid0(SALU_CYCLE_1)
	v_mov_b32_e32 v2, s7
	global_wb scope:SCOPE_SYS
	s_wait_loadcnt 0x0
	s_wait_storecnt 0x0
	global_atomic_add_u64 v[0:1], v[2:3], off offset:8 scope:SCOPE_SYS
.LBB7_124:
	s_wait_xcnt 0x0
	s_or_b32 exec_lo, exec_lo, s6
	s_wait_loadcnt 0x0
	global_load_b64 v[2:3], v[0:1], off offset:16
	s_wait_loadcnt 0x0
	v_cmp_eq_u64_e32 vcc_lo, 0, v[2:3]
	s_cbranch_vccnz .LBB7_126
; %bb.125:
	global_load_b32 v0, v[0:1], off offset:24
	s_wait_xcnt 0x0
	v_mov_b32_e32 v1, 0
	s_wait_loadcnt 0x0
	v_readfirstlane_b32 s6, v0
	global_wb scope:SCOPE_SYS
	s_wait_storecnt 0x0
	global_store_b64 v[2:3], v[0:1], off scope:SCOPE_SYS
	s_and_b32 m0, s6, 0xffffff
	s_sendmsg sendmsg(MSG_INTERRUPT)
.LBB7_126:
	s_wait_xcnt 0x0
	s_or_b32 exec_lo, exec_lo, s1
	s_branch .LBB7_130
.LBB7_127:                              ;   in Loop: Header=BB7_130 Depth=1
	s_wait_xcnt 0x0
	s_or_b32 exec_lo, exec_lo, s1
	s_delay_alu instid0(VALU_DEP_1)
	v_readfirstlane_b32 s1, v0
	s_cmp_eq_u32 s1, 0
	s_cbranch_scc1 .LBB7_129
; %bb.128:                              ;   in Loop: Header=BB7_130 Depth=1
	s_sleep 1
	s_cbranch_execnz .LBB7_130
	s_branch .LBB7_132
.LBB7_129:
	s_branch .LBB7_132
.LBB7_130:                              ; =>This Inner Loop Header: Depth=1
	v_mov_b32_e32 v0, 1
	s_and_saveexec_b32 s1, s0
	s_cbranch_execz .LBB7_127
; %bb.131:                              ;   in Loop: Header=BB7_130 Depth=1
	global_load_b32 v0, v[10:11], off offset:20 scope:SCOPE_SYS
	s_wait_loadcnt 0x0
	global_inv scope:SCOPE_SYS
	v_and_b32_e32 v0, 1, v0
	s_branch .LBB7_127
.LBB7_132:
	s_and_saveexec_b32 s1, s0
	s_cbranch_execz .LBB7_136
; %bb.133:
	v_mov_b32_e32 v6, 0
	s_clause 0x2
	global_load_b64 v[0:1], v6, s[2:3] offset:40
	global_load_b64 v[10:11], v6, s[2:3] offset:24 scope:SCOPE_SYS
	global_load_b64 v[2:3], v6, s[2:3]
	s_wait_loadcnt 0x2
	v_readfirstlane_b32 s6, v0
	v_readfirstlane_b32 s7, v1
	s_add_nc_u64 s[0:1], s[6:7], 1
	s_delay_alu instid0(SALU_CYCLE_1) | instskip(NEXT) | instid1(SALU_CYCLE_1)
	s_add_nc_u64 s[4:5], s[0:1], s[4:5]
	s_cmp_eq_u64 s[4:5], 0
	s_cselect_b32 s1, s1, s5
	s_cselect_b32 s0, s0, s4
	v_mov_b32_e32 v9, s1
	s_and_b64 s[4:5], s[0:1], s[6:7]
	v_mov_b32_e32 v8, s0
	s_mul_u64 s[4:5], s[4:5], 24
	s_wait_loadcnt 0x0
	v_add_nc_u64_e32 v[4:5], s[4:5], v[2:3]
	global_store_b64 v[4:5], v[10:11], off
	global_wb scope:SCOPE_SYS
	s_wait_storecnt 0x0
	s_wait_xcnt 0x0
	global_atomic_cmpswap_b64 v[2:3], v6, v[8:11], s[2:3] offset:24 th:TH_ATOMIC_RETURN scope:SCOPE_SYS
	s_wait_loadcnt 0x0
	v_cmp_ne_u64_e32 vcc_lo, v[2:3], v[10:11]
	s_and_b32 exec_lo, exec_lo, vcc_lo
	s_cbranch_execz .LBB7_136
; %bb.134:
	s_mov_b32 s4, 0
.LBB7_135:                              ; =>This Inner Loop Header: Depth=1
	v_dual_mov_b32 v0, s0 :: v_dual_mov_b32 v1, s1
	s_sleep 1
	global_store_b64 v[4:5], v[2:3], off
	global_wb scope:SCOPE_SYS
	s_wait_storecnt 0x0
	s_wait_xcnt 0x0
	global_atomic_cmpswap_b64 v[0:1], v6, v[0:3], s[2:3] offset:24 th:TH_ATOMIC_RETURN scope:SCOPE_SYS
	s_wait_loadcnt 0x0
	v_cmp_eq_u64_e32 vcc_lo, v[0:1], v[2:3]
	v_mov_b64_e32 v[2:3], v[0:1]
	s_or_b32 s4, vcc_lo, s4
	s_delay_alu instid0(SALU_CYCLE_1)
	s_and_not1_b32 exec_lo, exec_lo, s4
	s_cbranch_execnz .LBB7_135
.LBB7_136:
	s_endpgm
	.section	.rodata,"a",@progbits
	.p2align	6, 0x0
	.amdhsa_kernel _ZN2at6native30tinygemm_m16n8k16_chunk_kernelINS0_10ALayout_RMILNS0_14KReductionTypeE0EEENS0_15BLayout_TC_int4ILi4ELi128EEES4_Li8ELi8EEEvPKvS8_S8_Pviiiiii
		.amdhsa_group_segment_fixed_size 0
		.amdhsa_private_segment_fixed_size 0
		.amdhsa_kernarg_size 312
		.amdhsa_user_sgpr_count 2
		.amdhsa_user_sgpr_dispatch_ptr 0
		.amdhsa_user_sgpr_queue_ptr 0
		.amdhsa_user_sgpr_kernarg_segment_ptr 1
		.amdhsa_user_sgpr_dispatch_id 0
		.amdhsa_user_sgpr_kernarg_preload_length 0
		.amdhsa_user_sgpr_kernarg_preload_offset 0
		.amdhsa_user_sgpr_private_segment_size 0
		.amdhsa_wavefront_size32 1
		.amdhsa_uses_dynamic_stack 0
		.amdhsa_enable_private_segment 0
		.amdhsa_system_sgpr_workgroup_id_x 1
		.amdhsa_system_sgpr_workgroup_id_y 0
		.amdhsa_system_sgpr_workgroup_id_z 0
		.amdhsa_system_sgpr_workgroup_info 0
		.amdhsa_system_vgpr_workitem_id 0
		.amdhsa_next_free_vgpr 33
		.amdhsa_next_free_sgpr 18
		.amdhsa_named_barrier_count 0
		.amdhsa_reserve_vcc 1
		.amdhsa_float_round_mode_32 0
		.amdhsa_float_round_mode_16_64 0
		.amdhsa_float_denorm_mode_32 3
		.amdhsa_float_denorm_mode_16_64 3
		.amdhsa_fp16_overflow 0
		.amdhsa_memory_ordered 1
		.amdhsa_forward_progress 1
		.amdhsa_inst_pref_size 43
		.amdhsa_round_robin_scheduling 0
		.amdhsa_exception_fp_ieee_invalid_op 0
		.amdhsa_exception_fp_denorm_src 0
		.amdhsa_exception_fp_ieee_div_zero 0
		.amdhsa_exception_fp_ieee_overflow 0
		.amdhsa_exception_fp_ieee_underflow 0
		.amdhsa_exception_fp_ieee_inexact 0
		.amdhsa_exception_int_div_zero 0
	.end_amdhsa_kernel
	.section	.text._ZN2at6native30tinygemm_m16n8k16_chunk_kernelINS0_10ALayout_RMILNS0_14KReductionTypeE0EEENS0_15BLayout_TC_int4ILi4ELi128EEES4_Li8ELi8EEEvPKvS8_S8_Pviiiiii,"axG",@progbits,_ZN2at6native30tinygemm_m16n8k16_chunk_kernelINS0_10ALayout_RMILNS0_14KReductionTypeE0EEENS0_15BLayout_TC_int4ILi4ELi128EEES4_Li8ELi8EEEvPKvS8_S8_Pviiiiii,comdat
.Lfunc_end7:
	.size	_ZN2at6native30tinygemm_m16n8k16_chunk_kernelINS0_10ALayout_RMILNS0_14KReductionTypeE0EEENS0_15BLayout_TC_int4ILi4ELi128EEES4_Li8ELi8EEEvPKvS8_S8_Pviiiiii, .Lfunc_end7-_ZN2at6native30tinygemm_m16n8k16_chunk_kernelINS0_10ALayout_RMILNS0_14KReductionTypeE0EEENS0_15BLayout_TC_int4ILi4ELi128EEES4_Li8ELi8EEEvPKvS8_S8_Pviiiiii
                                        ; -- End function
	.set _ZN2at6native30tinygemm_m16n8k16_chunk_kernelINS0_10ALayout_RMILNS0_14KReductionTypeE0EEENS0_15BLayout_TC_int4ILi4ELi128EEES4_Li8ELi8EEEvPKvS8_S8_Pviiiiii.num_vgpr, 33
	.set _ZN2at6native30tinygemm_m16n8k16_chunk_kernelINS0_10ALayout_RMILNS0_14KReductionTypeE0EEENS0_15BLayout_TC_int4ILi4ELi128EEES4_Li8ELi8EEEvPKvS8_S8_Pviiiiii.num_agpr, 0
	.set _ZN2at6native30tinygemm_m16n8k16_chunk_kernelINS0_10ALayout_RMILNS0_14KReductionTypeE0EEENS0_15BLayout_TC_int4ILi4ELi128EEES4_Li8ELi8EEEvPKvS8_S8_Pviiiiii.numbered_sgpr, 18
	.set _ZN2at6native30tinygemm_m16n8k16_chunk_kernelINS0_10ALayout_RMILNS0_14KReductionTypeE0EEENS0_15BLayout_TC_int4ILi4ELi128EEES4_Li8ELi8EEEvPKvS8_S8_Pviiiiii.num_named_barrier, 0
	.set _ZN2at6native30tinygemm_m16n8k16_chunk_kernelINS0_10ALayout_RMILNS0_14KReductionTypeE0EEENS0_15BLayout_TC_int4ILi4ELi128EEES4_Li8ELi8EEEvPKvS8_S8_Pviiiiii.private_seg_size, 0
	.set _ZN2at6native30tinygemm_m16n8k16_chunk_kernelINS0_10ALayout_RMILNS0_14KReductionTypeE0EEENS0_15BLayout_TC_int4ILi4ELi128EEES4_Li8ELi8EEEvPKvS8_S8_Pviiiiii.uses_vcc, 1
	.set _ZN2at6native30tinygemm_m16n8k16_chunk_kernelINS0_10ALayout_RMILNS0_14KReductionTypeE0EEENS0_15BLayout_TC_int4ILi4ELi128EEES4_Li8ELi8EEEvPKvS8_S8_Pviiiiii.uses_flat_scratch, 0
	.set _ZN2at6native30tinygemm_m16n8k16_chunk_kernelINS0_10ALayout_RMILNS0_14KReductionTypeE0EEENS0_15BLayout_TC_int4ILi4ELi128EEES4_Li8ELi8EEEvPKvS8_S8_Pviiiiii.has_dyn_sized_stack, 0
	.set _ZN2at6native30tinygemm_m16n8k16_chunk_kernelINS0_10ALayout_RMILNS0_14KReductionTypeE0EEENS0_15BLayout_TC_int4ILi4ELi128EEES4_Li8ELi8EEEvPKvS8_S8_Pviiiiii.has_recursion, 0
	.set _ZN2at6native30tinygemm_m16n8k16_chunk_kernelINS0_10ALayout_RMILNS0_14KReductionTypeE0EEENS0_15BLayout_TC_int4ILi4ELi128EEES4_Li8ELi8EEEvPKvS8_S8_Pviiiiii.has_indirect_call, 0
	.section	.AMDGPU.csdata,"",@progbits
; Kernel info:
; codeLenInByte = 5440
; TotalNumSgprs: 20
; NumVgprs: 33
; ScratchSize: 0
; MemoryBound: 0
; FloatMode: 240
; IeeeMode: 1
; LDSByteSize: 0 bytes/workgroup (compile time only)
; SGPRBlocks: 0
; VGPRBlocks: 2
; NumSGPRsForWavesPerEU: 20
; NumVGPRsForWavesPerEU: 33
; NamedBarCnt: 0
; Occupancy: 16
; WaveLimiterHint : 1
; COMPUTE_PGM_RSRC2:SCRATCH_EN: 0
; COMPUTE_PGM_RSRC2:USER_SGPR: 2
; COMPUTE_PGM_RSRC2:TRAP_HANDLER: 0
; COMPUTE_PGM_RSRC2:TGID_X_EN: 1
; COMPUTE_PGM_RSRC2:TGID_Y_EN: 0
; COMPUTE_PGM_RSRC2:TGID_Z_EN: 0
; COMPUTE_PGM_RSRC2:TIDIG_COMP_CNT: 0
	.section	.text._ZN2at6native30tinygemm_m16n8k16_chunk_kernelINS0_10ALayout_RMILNS0_14KReductionTypeE0EEENS0_15BLayout_TC_int4ILi8ELi128EEES4_Li8ELi8EEEvPKvS8_S8_Pviiiiii,"axG",@progbits,_ZN2at6native30tinygemm_m16n8k16_chunk_kernelINS0_10ALayout_RMILNS0_14KReductionTypeE0EEENS0_15BLayout_TC_int4ILi8ELi128EEES4_Li8ELi8EEEvPKvS8_S8_Pviiiiii,comdat
	.protected	_ZN2at6native30tinygemm_m16n8k16_chunk_kernelINS0_10ALayout_RMILNS0_14KReductionTypeE0EEENS0_15BLayout_TC_int4ILi8ELi128EEES4_Li8ELi8EEEvPKvS8_S8_Pviiiiii ; -- Begin function _ZN2at6native30tinygemm_m16n8k16_chunk_kernelINS0_10ALayout_RMILNS0_14KReductionTypeE0EEENS0_15BLayout_TC_int4ILi8ELi128EEES4_Li8ELi8EEEvPKvS8_S8_Pviiiiii
	.globl	_ZN2at6native30tinygemm_m16n8k16_chunk_kernelINS0_10ALayout_RMILNS0_14KReductionTypeE0EEENS0_15BLayout_TC_int4ILi8ELi128EEES4_Li8ELi8EEEvPKvS8_S8_Pviiiiii
	.p2align	8
	.type	_ZN2at6native30tinygemm_m16n8k16_chunk_kernelINS0_10ALayout_RMILNS0_14KReductionTypeE0EEENS0_15BLayout_TC_int4ILi8ELi128EEES4_Li8ELi8EEEvPKvS8_S8_Pviiiiii,@function
_ZN2at6native30tinygemm_m16n8k16_chunk_kernelINS0_10ALayout_RMILNS0_14KReductionTypeE0EEENS0_15BLayout_TC_int4ILi8ELi128EEES4_Li8ELi8EEEvPKvS8_S8_Pviiiiii: ; @_ZN2at6native30tinygemm_m16n8k16_chunk_kernelINS0_10ALayout_RMILNS0_14KReductionTypeE0EEENS0_15BLayout_TC_int4ILi8ELi128EEES4_Li8ELi8EEEvPKvS8_S8_Pviiiiii
; %bb.0:
	s_load_b64 s[2:3], s[0:1], 0x88
	v_mbcnt_lo_u32_b32 v32, -1, 0
	v_mov_b64_e32 v[2:3], 0
	s_wait_xcnt 0x0
	s_delay_alu instid0(VALU_DEP_2) | instskip(NEXT) | instid1(VALU_DEP_1)
	v_readfirstlane_b32 s0, v32
	v_cmp_eq_u32_e64 s0, s0, v32
	s_and_saveexec_b32 s1, s0
	s_cbranch_execz .LBB8_6
; %bb.1:
	v_mov_b32_e32 v0, 0
	s_mov_b32 s4, exec_lo
	s_wait_kmcnt 0x0
	global_load_b64 v[4:5], v0, s[2:3] offset:24 scope:SCOPE_SYS
	s_wait_loadcnt 0x0
	global_inv scope:SCOPE_SYS
	s_clause 0x1
	global_load_b64 v[2:3], v0, s[2:3] offset:40
	global_load_b64 v[6:7], v0, s[2:3]
	s_wait_loadcnt 0x1
	v_and_b32_e32 v2, v2, v4
	v_and_b32_e32 v3, v3, v5
	s_delay_alu instid0(VALU_DEP_1) | instskip(SKIP_1) | instid1(VALU_DEP_1)
	v_mul_u64_e32 v[2:3], 24, v[2:3]
	s_wait_loadcnt 0x0
	v_add_nc_u64_e32 v[2:3], v[6:7], v[2:3]
	global_load_b64 v[2:3], v[2:3], off scope:SCOPE_SYS
	s_wait_xcnt 0x0
	s_wait_loadcnt 0x0
	global_atomic_cmpswap_b64 v[2:3], v0, v[2:5], s[2:3] offset:24 th:TH_ATOMIC_RETURN scope:SCOPE_SYS
	s_wait_loadcnt 0x0
	global_inv scope:SCOPE_SYS
	s_wait_xcnt 0x0
	v_cmpx_ne_u64_e64 v[2:3], v[4:5]
	s_cbranch_execz .LBB8_5
; %bb.2:
	s_mov_b32 s5, 0
.LBB8_3:                                ; =>This Inner Loop Header: Depth=1
	s_sleep 1
	s_clause 0x1
	global_load_b64 v[6:7], v0, s[2:3] offset:40
	global_load_b64 v[8:9], v0, s[2:3]
	v_mov_b64_e32 v[4:5], v[2:3]
	s_wait_loadcnt 0x1
	s_delay_alu instid0(VALU_DEP_1) | instskip(SKIP_1) | instid1(VALU_DEP_1)
	v_and_b32_e32 v1, v6, v4
	s_wait_loadcnt 0x0
	v_mad_nc_u64_u32 v[2:3], v1, 24, v[8:9]
	s_delay_alu instid0(VALU_DEP_3) | instskip(NEXT) | instid1(VALU_DEP_1)
	v_and_b32_e32 v1, v7, v5
	v_mad_u32 v3, v1, 24, v3
	global_load_b64 v[2:3], v[2:3], off scope:SCOPE_SYS
	s_wait_xcnt 0x0
	s_wait_loadcnt 0x0
	global_atomic_cmpswap_b64 v[2:3], v0, v[2:5], s[2:3] offset:24 th:TH_ATOMIC_RETURN scope:SCOPE_SYS
	s_wait_loadcnt 0x0
	global_inv scope:SCOPE_SYS
	v_cmp_eq_u64_e32 vcc_lo, v[2:3], v[4:5]
	s_or_b32 s5, vcc_lo, s5
	s_wait_xcnt 0x0
	s_and_not1_b32 exec_lo, exec_lo, s5
	s_cbranch_execnz .LBB8_3
; %bb.4:
	s_or_b32 exec_lo, exec_lo, s5
.LBB8_5:
	s_delay_alu instid0(SALU_CYCLE_1)
	s_or_b32 exec_lo, exec_lo, s4
.LBB8_6:
	s_delay_alu instid0(SALU_CYCLE_1)
	s_or_b32 exec_lo, exec_lo, s1
	v_readfirstlane_b32 s4, v2
	v_mov_b32_e32 v1, 0
	v_readfirstlane_b32 s5, v3
	s_mov_b32 s1, exec_lo
	s_wait_kmcnt 0x0
	s_clause 0x1
	global_load_b64 v[8:9], v1, s[2:3] offset:40
	global_load_b128 v[4:7], v1, s[2:3]
	s_wait_loadcnt 0x1
	v_and_b32_e32 v10, s4, v8
	v_and_b32_e32 v11, s5, v9
	s_delay_alu instid0(VALU_DEP_1) | instskip(SKIP_1) | instid1(VALU_DEP_1)
	v_mul_u64_e32 v[2:3], 24, v[10:11]
	s_wait_loadcnt 0x0
	v_add_nc_u64_e32 v[8:9], v[4:5], v[2:3]
	s_and_saveexec_b32 s6, s0
	s_cbranch_execz .LBB8_8
; %bb.7:
	v_mov_b64_e32 v[2:3], 0x100000002
	v_mov_b32_e32 v0, s1
	global_store_b128 v[8:9], v[0:3], off offset:8
.LBB8_8:
	s_wait_xcnt 0x0
	s_or_b32 exec_lo, exec_lo, s6
	v_lshlrev_b64_e32 v[2:3], 12, v[10:11]
	s_mov_b32 s8, 0
	v_dual_lshlrev_b32 v0, 6, v32 :: v_dual_mov_b32 v10, 33
	s_mov_b32 s10, s8
	s_mov_b32 s11, s8
	;; [unrolled: 1-line block ×3, first 2 shown]
	s_delay_alu instid0(VALU_DEP_2)
	v_add_nc_u64_e32 v[6:7], v[6:7], v[2:3]
	v_mov_b64_e32 v[16:17], s[10:11]
	v_mov_b64_e32 v[14:15], s[8:9]
	v_dual_mov_b32 v11, v1 :: v_dual_mov_b32 v12, v1
	v_mov_b32_e32 v13, v1
	v_readfirstlane_b32 s6, v6
	v_readfirstlane_b32 s7, v7
	s_clause 0x3
	global_store_b128 v0, v[10:13], s[6:7]
	global_store_b128 v0, v[14:17], s[6:7] offset:16
	global_store_b128 v0, v[14:17], s[6:7] offset:32
	;; [unrolled: 1-line block ×3, first 2 shown]
	s_wait_xcnt 0x0
	s_and_saveexec_b32 s1, s0
	s_cbranch_execz .LBB8_16
; %bb.9:
	v_dual_mov_b32 v12, 0 :: v_dual_mov_b32 v15, s5
	s_mov_b32 s6, exec_lo
	s_clause 0x1
	global_load_b64 v[16:17], v12, s[2:3] offset:32 scope:SCOPE_SYS
	global_load_b64 v[2:3], v12, s[2:3] offset:40
	s_wait_loadcnt 0x0
	v_dual_mov_b32 v14, s4 :: v_dual_bitop2_b32 v3, s5, v3 bitop3:0x40
	v_and_b32_e32 v2, s4, v2
	s_delay_alu instid0(VALU_DEP_1) | instskip(NEXT) | instid1(VALU_DEP_1)
	v_mul_u64_e32 v[2:3], 24, v[2:3]
	v_add_nc_u64_e32 v[10:11], v[4:5], v[2:3]
	global_store_b64 v[10:11], v[16:17], off
	global_wb scope:SCOPE_SYS
	s_wait_storecnt 0x0
	s_wait_xcnt 0x0
	global_atomic_cmpswap_b64 v[4:5], v12, v[14:17], s[2:3] offset:32 th:TH_ATOMIC_RETURN scope:SCOPE_SYS
	s_wait_loadcnt 0x0
	v_cmpx_ne_u64_e64 v[4:5], v[16:17]
	s_cbranch_execz .LBB8_12
; %bb.10:
	s_mov_b32 s7, 0
.LBB8_11:                               ; =>This Inner Loop Header: Depth=1
	v_dual_mov_b32 v2, s4 :: v_dual_mov_b32 v3, s5
	s_sleep 1
	global_store_b64 v[10:11], v[4:5], off
	global_wb scope:SCOPE_SYS
	s_wait_storecnt 0x0
	s_wait_xcnt 0x0
	global_atomic_cmpswap_b64 v[2:3], v12, v[2:5], s[2:3] offset:32 th:TH_ATOMIC_RETURN scope:SCOPE_SYS
	s_wait_loadcnt 0x0
	v_cmp_eq_u64_e32 vcc_lo, v[2:3], v[4:5]
	v_mov_b64_e32 v[4:5], v[2:3]
	s_or_b32 s7, vcc_lo, s7
	s_delay_alu instid0(SALU_CYCLE_1)
	s_and_not1_b32 exec_lo, exec_lo, s7
	s_cbranch_execnz .LBB8_11
.LBB8_12:
	s_or_b32 exec_lo, exec_lo, s6
	v_mov_b32_e32 v5, 0
	s_mov_b32 s7, exec_lo
	s_mov_b32 s6, exec_lo
	v_mbcnt_lo_u32_b32 v4, s7, 0
	global_load_b64 v[2:3], v5, s[2:3] offset:16
	s_wait_xcnt 0x0
	v_cmpx_eq_u32_e32 0, v4
	s_cbranch_execz .LBB8_14
; %bb.13:
	s_bcnt1_i32_b32 s7, s7
	s_delay_alu instid0(SALU_CYCLE_1)
	v_mov_b32_e32 v4, s7
	global_wb scope:SCOPE_SYS
	s_wait_loadcnt 0x0
	s_wait_storecnt 0x0
	global_atomic_add_u64 v[2:3], v[4:5], off offset:8 scope:SCOPE_SYS
.LBB8_14:
	s_wait_xcnt 0x0
	s_or_b32 exec_lo, exec_lo, s6
	s_wait_loadcnt 0x0
	global_load_b64 v[4:5], v[2:3], off offset:16
	s_wait_loadcnt 0x0
	v_cmp_eq_u64_e32 vcc_lo, 0, v[4:5]
	s_cbranch_vccnz .LBB8_16
; %bb.15:
	global_load_b32 v2, v[2:3], off offset:24
	s_wait_xcnt 0x0
	v_mov_b32_e32 v3, 0
	s_wait_loadcnt 0x0
	v_readfirstlane_b32 s6, v2
	global_wb scope:SCOPE_SYS
	s_wait_storecnt 0x0
	global_store_b64 v[4:5], v[2:3], off scope:SCOPE_SYS
	s_and_b32 m0, s6, 0xffffff
	s_sendmsg sendmsg(MSG_INTERRUPT)
.LBB8_16:
	s_wait_xcnt 0x0
	s_or_b32 exec_lo, exec_lo, s1
	v_add_nc_u64_e32 v[2:3], v[6:7], v[0:1]
	s_branch .LBB8_20
.LBB8_17:                               ;   in Loop: Header=BB8_20 Depth=1
	s_wait_xcnt 0x0
	s_or_b32 exec_lo, exec_lo, s1
	s_delay_alu instid0(VALU_DEP_1)
	v_readfirstlane_b32 s1, v1
	s_cmp_eq_u32 s1, 0
	s_cbranch_scc1 .LBB8_19
; %bb.18:                               ;   in Loop: Header=BB8_20 Depth=1
	s_sleep 1
	s_cbranch_execnz .LBB8_20
	s_branch .LBB8_22
.LBB8_19:
	s_branch .LBB8_22
.LBB8_20:                               ; =>This Inner Loop Header: Depth=1
	v_mov_b32_e32 v1, 1
	s_and_saveexec_b32 s1, s0
	s_cbranch_execz .LBB8_17
; %bb.21:                               ;   in Loop: Header=BB8_20 Depth=1
	global_load_b32 v1, v[8:9], off offset:20 scope:SCOPE_SYS
	s_wait_loadcnt 0x0
	global_inv scope:SCOPE_SYS
	v_and_b32_e32 v1, 1, v1
	s_branch .LBB8_17
.LBB8_22:
	global_load_b64 v[2:3], v[2:3], off
	s_wait_xcnt 0x0
	s_and_saveexec_b32 s6, s0
	s_cbranch_execz .LBB8_26
; %bb.23:
	v_mov_b32_e32 v1, 0
	s_clause 0x2
	global_load_b64 v[4:5], v1, s[2:3] offset:40
	global_load_b64 v[12:13], v1, s[2:3] offset:24 scope:SCOPE_SYS
	global_load_b64 v[6:7], v1, s[2:3]
	s_wait_loadcnt 0x2
	v_readfirstlane_b32 s8, v4
	v_readfirstlane_b32 s9, v5
	s_add_nc_u64 s[0:1], s[8:9], 1
	s_delay_alu instid0(SALU_CYCLE_1) | instskip(NEXT) | instid1(SALU_CYCLE_1)
	s_add_nc_u64 s[4:5], s[0:1], s[4:5]
	s_cmp_eq_u64 s[4:5], 0
	s_cselect_b32 s1, s1, s5
	s_cselect_b32 s0, s0, s4
	v_mov_b32_e32 v11, s1
	s_and_b64 s[4:5], s[0:1], s[8:9]
	v_mov_b32_e32 v10, s0
	s_mul_u64 s[4:5], s[4:5], 24
	s_wait_loadcnt 0x0
	v_add_nc_u64_e32 v[8:9], s[4:5], v[6:7]
	global_store_b64 v[8:9], v[12:13], off
	global_wb scope:SCOPE_SYS
	s_wait_storecnt 0x0
	s_wait_xcnt 0x0
	global_atomic_cmpswap_b64 v[6:7], v1, v[10:13], s[2:3] offset:24 th:TH_ATOMIC_RETURN scope:SCOPE_SYS
	s_wait_loadcnt 0x0
	v_cmp_ne_u64_e32 vcc_lo, v[6:7], v[12:13]
	s_and_b32 exec_lo, exec_lo, vcc_lo
	s_cbranch_execz .LBB8_26
; %bb.24:
	s_mov_b32 s4, 0
.LBB8_25:                               ; =>This Inner Loop Header: Depth=1
	v_dual_mov_b32 v4, s0 :: v_dual_mov_b32 v5, s1
	s_sleep 1
	global_store_b64 v[8:9], v[6:7], off
	global_wb scope:SCOPE_SYS
	s_wait_storecnt 0x0
	s_wait_xcnt 0x0
	global_atomic_cmpswap_b64 v[4:5], v1, v[4:7], s[2:3] offset:24 th:TH_ATOMIC_RETURN scope:SCOPE_SYS
	s_wait_loadcnt 0x0
	v_cmp_eq_u64_e32 vcc_lo, v[4:5], v[6:7]
	v_mov_b64_e32 v[6:7], v[4:5]
	s_or_b32 s4, vcc_lo, s4
	s_delay_alu instid0(SALU_CYCLE_1)
	s_and_not1_b32 exec_lo, exec_lo, s4
	s_cbranch_execnz .LBB8_25
.LBB8_26:
	s_or_b32 exec_lo, exec_lo, s6
	s_get_pc_i64 s[4:5]
	s_add_nc_u64 s[4:5], s[4:5], .str@rel64+4
	s_mov_b64 s[6:7], 0
	s_cmp_lg_u64 s[4:5], 0
	s_cselect_b32 s8, -1, 0
	s_cmp_eq_u64 s[4:5], 0
	s_cbranch_scc1 .LBB8_30
; %bb.27:
	s_get_pc_i64 s[0:1]
	s_add_nc_u64 s[0:1], s[0:1], .str@rel64+3
.LBB8_28:                               ; =>This Inner Loop Header: Depth=1
	s_load_u8 s6, s[0:1], 0x1
	s_wait_xcnt 0x0
	s_add_nc_u64 s[0:1], s[0:1], 1
	s_wait_kmcnt 0x0
	s_cmp_lg_u32 s6, 0
	s_cbranch_scc1 .LBB8_28
; %bb.29:
	s_get_pc_i64 s[6:7]
	s_add_nc_u64 s[6:7], s[6:7], .str@rel64+4
	s_delay_alu instid0(SALU_CYCLE_1) | instskip(NEXT) | instid1(SALU_CYCLE_1)
	s_sub_nc_u64 s[0:1], s[0:1], s[6:7]
	s_add_nc_u64 s[6:7], s[0:1], 1
.LBB8_30:
	s_and_b32 vcc_lo, exec_lo, s8
	s_cbranch_vccz .LBB8_109
; %bb.31:
	v_mov_b64_e32 v[6:7], 0x100000002
	s_wait_loadcnt 0x0
	v_dual_mov_b32 v9, v3 :: v_dual_bitop2_b32 v8, -3, v2 bitop3:0x40
	v_mov_b32_e32 v5, 0
	s_branch .LBB8_33
.LBB8_32:                               ;   in Loop: Header=BB8_33 Depth=1
	s_or_b32 exec_lo, exec_lo, s12
	s_sub_nc_u64 s[6:7], s[6:7], s[8:9]
	s_add_nc_u64 s[4:5], s[4:5], s[8:9]
	s_cmp_lg_u64 s[6:7], 0
	s_cbranch_scc0 .LBB8_108
.LBB8_33:                               ; =>This Loop Header: Depth=1
                                        ;     Child Loop BB8_36 Depth 2
                                        ;     Child Loop BB8_43 Depth 2
	;; [unrolled: 1-line block ×11, first 2 shown]
	s_wait_loadcnt 0x0
	v_min_u64 v[10:11], s[6:7], 56
	v_cmp_gt_u64_e64 s0, s[6:7], 7
	s_and_b32 vcc_lo, exec_lo, s0
	v_readfirstlane_b32 s8, v10
	v_readfirstlane_b32 s9, v11
	s_cbranch_vccnz .LBB8_38
; %bb.34:                               ;   in Loop: Header=BB8_33 Depth=1
	v_mov_b64_e32 v[10:11], 0
	s_cmp_eq_u64 s[6:7], 0
	s_cbranch_scc1 .LBB8_37
; %bb.35:                               ;   in Loop: Header=BB8_33 Depth=1
	s_mov_b64 s[0:1], 0
	s_mov_b64 s[10:11], 0
.LBB8_36:                               ;   Parent Loop BB8_33 Depth=1
                                        ; =>  This Inner Loop Header: Depth=2
	s_wait_xcnt 0x0
	s_add_nc_u64 s[12:13], s[4:5], s[10:11]
	s_add_nc_u64 s[10:11], s[10:11], 1
	global_load_u8 v1, v5, s[12:13]
	s_cmp_lg_u32 s8, s10
	s_wait_loadcnt 0x0
	v_and_b32_e32 v4, 0xffff, v1
	s_delay_alu instid0(VALU_DEP_1) | instskip(SKIP_1) | instid1(VALU_DEP_1)
	v_lshlrev_b64_e32 v[12:13], s0, v[4:5]
	s_add_nc_u64 s[0:1], s[0:1], 8
	v_or_b32_e32 v10, v12, v10
	s_delay_alu instid0(VALU_DEP_2)
	v_or_b32_e32 v11, v13, v11
	s_cbranch_scc1 .LBB8_36
.LBB8_37:                               ;   in Loop: Header=BB8_33 Depth=1
	s_mov_b64 s[10:11], s[4:5]
	s_mov_b32 s14, 0
	s_cbranch_execz .LBB8_39
	s_branch .LBB8_40
.LBB8_38:                               ;   in Loop: Header=BB8_33 Depth=1
	s_add_nc_u64 s[10:11], s[4:5], 8
	s_mov_b32 s14, 0
.LBB8_39:                               ;   in Loop: Header=BB8_33 Depth=1
	global_load_b64 v[10:11], v5, s[4:5]
	s_add_co_i32 s14, s8, -8
.LBB8_40:                               ;   in Loop: Header=BB8_33 Depth=1
	s_delay_alu instid0(SALU_CYCLE_1)
	s_cmp_gt_u32 s14, 7
	s_cbranch_scc1 .LBB8_45
; %bb.41:                               ;   in Loop: Header=BB8_33 Depth=1
	v_mov_b64_e32 v[12:13], 0
	s_cmp_eq_u32 s14, 0
	s_cbranch_scc1 .LBB8_44
; %bb.42:                               ;   in Loop: Header=BB8_33 Depth=1
	s_mov_b64 s[0:1], 0
	s_wait_xcnt 0x0
	s_mov_b64 s[12:13], 0
.LBB8_43:                               ;   Parent Loop BB8_33 Depth=1
                                        ; =>  This Inner Loop Header: Depth=2
	s_wait_xcnt 0x0
	s_add_nc_u64 s[16:17], s[10:11], s[12:13]
	s_add_nc_u64 s[12:13], s[12:13], 1
	global_load_u8 v1, v5, s[16:17]
	s_cmp_lg_u32 s14, s12
	s_wait_loadcnt 0x0
	v_and_b32_e32 v4, 0xffff, v1
	s_delay_alu instid0(VALU_DEP_1) | instskip(SKIP_1) | instid1(VALU_DEP_1)
	v_lshlrev_b64_e32 v[14:15], s0, v[4:5]
	s_add_nc_u64 s[0:1], s[0:1], 8
	v_or_b32_e32 v12, v14, v12
	s_delay_alu instid0(VALU_DEP_2)
	v_or_b32_e32 v13, v15, v13
	s_cbranch_scc1 .LBB8_43
.LBB8_44:                               ;   in Loop: Header=BB8_33 Depth=1
	s_wait_xcnt 0x0
	s_mov_b64 s[0:1], s[10:11]
	s_mov_b32 s15, 0
	s_cbranch_execz .LBB8_46
	s_branch .LBB8_47
.LBB8_45:                               ;   in Loop: Header=BB8_33 Depth=1
	s_add_nc_u64 s[0:1], s[10:11], 8
	s_wait_xcnt 0x0
                                        ; implicit-def: $vgpr12_vgpr13
	s_mov_b32 s15, 0
.LBB8_46:                               ;   in Loop: Header=BB8_33 Depth=1
	global_load_b64 v[12:13], v5, s[10:11]
	s_add_co_i32 s15, s14, -8
.LBB8_47:                               ;   in Loop: Header=BB8_33 Depth=1
	s_delay_alu instid0(SALU_CYCLE_1)
	s_cmp_gt_u32 s15, 7
	s_cbranch_scc1 .LBB8_52
; %bb.48:                               ;   in Loop: Header=BB8_33 Depth=1
	v_mov_b64_e32 v[14:15], 0
	s_cmp_eq_u32 s15, 0
	s_cbranch_scc1 .LBB8_51
; %bb.49:                               ;   in Loop: Header=BB8_33 Depth=1
	s_wait_xcnt 0x0
	s_mov_b64 s[10:11], 0
	s_mov_b64 s[12:13], 0
.LBB8_50:                               ;   Parent Loop BB8_33 Depth=1
                                        ; =>  This Inner Loop Header: Depth=2
	s_wait_xcnt 0x0
	s_add_nc_u64 s[16:17], s[0:1], s[12:13]
	s_add_nc_u64 s[12:13], s[12:13], 1
	global_load_u8 v1, v5, s[16:17]
	s_cmp_lg_u32 s15, s12
	s_wait_loadcnt 0x0
	v_and_b32_e32 v4, 0xffff, v1
	s_delay_alu instid0(VALU_DEP_1) | instskip(SKIP_1) | instid1(VALU_DEP_1)
	v_lshlrev_b64_e32 v[16:17], s10, v[4:5]
	s_add_nc_u64 s[10:11], s[10:11], 8
	v_or_b32_e32 v14, v16, v14
	s_delay_alu instid0(VALU_DEP_2)
	v_or_b32_e32 v15, v17, v15
	s_cbranch_scc1 .LBB8_50
.LBB8_51:                               ;   in Loop: Header=BB8_33 Depth=1
	s_wait_xcnt 0x0
	s_mov_b64 s[10:11], s[0:1]
	s_mov_b32 s14, 0
	s_cbranch_execz .LBB8_53
	s_branch .LBB8_54
.LBB8_52:                               ;   in Loop: Header=BB8_33 Depth=1
	s_wait_xcnt 0x0
	s_add_nc_u64 s[10:11], s[0:1], 8
	s_mov_b32 s14, 0
.LBB8_53:                               ;   in Loop: Header=BB8_33 Depth=1
	global_load_b64 v[14:15], v5, s[0:1]
	s_add_co_i32 s14, s15, -8
.LBB8_54:                               ;   in Loop: Header=BB8_33 Depth=1
	s_delay_alu instid0(SALU_CYCLE_1)
	s_cmp_gt_u32 s14, 7
	s_cbranch_scc1 .LBB8_59
; %bb.55:                               ;   in Loop: Header=BB8_33 Depth=1
	v_mov_b64_e32 v[16:17], 0
	s_cmp_eq_u32 s14, 0
	s_cbranch_scc1 .LBB8_58
; %bb.56:                               ;   in Loop: Header=BB8_33 Depth=1
	s_wait_xcnt 0x0
	s_mov_b64 s[0:1], 0
	s_mov_b64 s[12:13], 0
.LBB8_57:                               ;   Parent Loop BB8_33 Depth=1
                                        ; =>  This Inner Loop Header: Depth=2
	s_wait_xcnt 0x0
	s_add_nc_u64 s[16:17], s[10:11], s[12:13]
	s_add_nc_u64 s[12:13], s[12:13], 1
	global_load_u8 v1, v5, s[16:17]
	s_cmp_lg_u32 s14, s12
	s_wait_loadcnt 0x0
	v_and_b32_e32 v4, 0xffff, v1
	s_delay_alu instid0(VALU_DEP_1) | instskip(SKIP_1) | instid1(VALU_DEP_1)
	v_lshlrev_b64_e32 v[18:19], s0, v[4:5]
	s_add_nc_u64 s[0:1], s[0:1], 8
	v_or_b32_e32 v16, v18, v16
	s_delay_alu instid0(VALU_DEP_2)
	v_or_b32_e32 v17, v19, v17
	s_cbranch_scc1 .LBB8_57
.LBB8_58:                               ;   in Loop: Header=BB8_33 Depth=1
	s_wait_xcnt 0x0
	s_mov_b64 s[0:1], s[10:11]
	s_mov_b32 s15, 0
	s_cbranch_execz .LBB8_60
	s_branch .LBB8_61
.LBB8_59:                               ;   in Loop: Header=BB8_33 Depth=1
	s_wait_xcnt 0x0
	s_add_nc_u64 s[0:1], s[10:11], 8
                                        ; implicit-def: $vgpr16_vgpr17
	s_mov_b32 s15, 0
.LBB8_60:                               ;   in Loop: Header=BB8_33 Depth=1
	global_load_b64 v[16:17], v5, s[10:11]
	s_add_co_i32 s15, s14, -8
.LBB8_61:                               ;   in Loop: Header=BB8_33 Depth=1
	s_delay_alu instid0(SALU_CYCLE_1)
	s_cmp_gt_u32 s15, 7
	s_cbranch_scc1 .LBB8_66
; %bb.62:                               ;   in Loop: Header=BB8_33 Depth=1
	v_mov_b64_e32 v[18:19], 0
	s_cmp_eq_u32 s15, 0
	s_cbranch_scc1 .LBB8_65
; %bb.63:                               ;   in Loop: Header=BB8_33 Depth=1
	s_wait_xcnt 0x0
	s_mov_b64 s[10:11], 0
	s_mov_b64 s[12:13], 0
.LBB8_64:                               ;   Parent Loop BB8_33 Depth=1
                                        ; =>  This Inner Loop Header: Depth=2
	s_wait_xcnt 0x0
	s_add_nc_u64 s[16:17], s[0:1], s[12:13]
	s_add_nc_u64 s[12:13], s[12:13], 1
	global_load_u8 v1, v5, s[16:17]
	s_cmp_lg_u32 s15, s12
	s_wait_loadcnt 0x0
	v_and_b32_e32 v4, 0xffff, v1
	s_delay_alu instid0(VALU_DEP_1) | instskip(SKIP_1) | instid1(VALU_DEP_1)
	v_lshlrev_b64_e32 v[20:21], s10, v[4:5]
	s_add_nc_u64 s[10:11], s[10:11], 8
	v_or_b32_e32 v18, v20, v18
	s_delay_alu instid0(VALU_DEP_2)
	v_or_b32_e32 v19, v21, v19
	s_cbranch_scc1 .LBB8_64
.LBB8_65:                               ;   in Loop: Header=BB8_33 Depth=1
	s_wait_xcnt 0x0
	s_mov_b64 s[10:11], s[0:1]
	s_mov_b32 s14, 0
	s_cbranch_execz .LBB8_67
	s_branch .LBB8_68
.LBB8_66:                               ;   in Loop: Header=BB8_33 Depth=1
	s_wait_xcnt 0x0
	s_add_nc_u64 s[10:11], s[0:1], 8
	s_mov_b32 s14, 0
.LBB8_67:                               ;   in Loop: Header=BB8_33 Depth=1
	global_load_b64 v[18:19], v5, s[0:1]
	s_add_co_i32 s14, s15, -8
.LBB8_68:                               ;   in Loop: Header=BB8_33 Depth=1
	s_delay_alu instid0(SALU_CYCLE_1)
	s_cmp_gt_u32 s14, 7
	s_cbranch_scc1 .LBB8_73
; %bb.69:                               ;   in Loop: Header=BB8_33 Depth=1
	v_mov_b64_e32 v[20:21], 0
	s_cmp_eq_u32 s14, 0
	s_cbranch_scc1 .LBB8_72
; %bb.70:                               ;   in Loop: Header=BB8_33 Depth=1
	s_wait_xcnt 0x0
	s_mov_b64 s[0:1], 0
	s_mov_b64 s[12:13], 0
.LBB8_71:                               ;   Parent Loop BB8_33 Depth=1
                                        ; =>  This Inner Loop Header: Depth=2
	s_wait_xcnt 0x0
	s_add_nc_u64 s[16:17], s[10:11], s[12:13]
	s_add_nc_u64 s[12:13], s[12:13], 1
	global_load_u8 v1, v5, s[16:17]
	s_cmp_lg_u32 s14, s12
	s_wait_loadcnt 0x0
	v_and_b32_e32 v4, 0xffff, v1
	s_delay_alu instid0(VALU_DEP_1) | instskip(SKIP_1) | instid1(VALU_DEP_1)
	v_lshlrev_b64_e32 v[22:23], s0, v[4:5]
	s_add_nc_u64 s[0:1], s[0:1], 8
	v_or_b32_e32 v20, v22, v20
	s_delay_alu instid0(VALU_DEP_2)
	v_or_b32_e32 v21, v23, v21
	s_cbranch_scc1 .LBB8_71
.LBB8_72:                               ;   in Loop: Header=BB8_33 Depth=1
	s_wait_xcnt 0x0
	s_mov_b64 s[0:1], s[10:11]
	s_mov_b32 s15, 0
	s_cbranch_execz .LBB8_74
	s_branch .LBB8_75
.LBB8_73:                               ;   in Loop: Header=BB8_33 Depth=1
	s_wait_xcnt 0x0
	s_add_nc_u64 s[0:1], s[10:11], 8
                                        ; implicit-def: $vgpr20_vgpr21
	s_mov_b32 s15, 0
.LBB8_74:                               ;   in Loop: Header=BB8_33 Depth=1
	global_load_b64 v[20:21], v5, s[10:11]
	s_add_co_i32 s15, s14, -8
.LBB8_75:                               ;   in Loop: Header=BB8_33 Depth=1
	s_delay_alu instid0(SALU_CYCLE_1)
	s_cmp_gt_u32 s15, 7
	s_cbranch_scc1 .LBB8_80
; %bb.76:                               ;   in Loop: Header=BB8_33 Depth=1
	v_mov_b64_e32 v[22:23], 0
	s_cmp_eq_u32 s15, 0
	s_cbranch_scc1 .LBB8_79
; %bb.77:                               ;   in Loop: Header=BB8_33 Depth=1
	s_wait_xcnt 0x0
	s_mov_b64 s[10:11], 0
	s_mov_b64 s[12:13], s[0:1]
.LBB8_78:                               ;   Parent Loop BB8_33 Depth=1
                                        ; =>  This Inner Loop Header: Depth=2
	global_load_u8 v1, v5, s[12:13]
	s_add_co_i32 s15, s15, -1
	s_wait_xcnt 0x0
	s_add_nc_u64 s[12:13], s[12:13], 1
	s_cmp_lg_u32 s15, 0
	s_wait_loadcnt 0x0
	v_and_b32_e32 v4, 0xffff, v1
	s_delay_alu instid0(VALU_DEP_1) | instskip(SKIP_1) | instid1(VALU_DEP_1)
	v_lshlrev_b64_e32 v[24:25], s10, v[4:5]
	s_add_nc_u64 s[10:11], s[10:11], 8
	v_or_b32_e32 v22, v24, v22
	s_delay_alu instid0(VALU_DEP_2)
	v_or_b32_e32 v23, v25, v23
	s_cbranch_scc1 .LBB8_78
.LBB8_79:                               ;   in Loop: Header=BB8_33 Depth=1
	s_wait_xcnt 0x0
	s_cbranch_execz .LBB8_81
	s_branch .LBB8_82
.LBB8_80:                               ;   in Loop: Header=BB8_33 Depth=1
	s_wait_xcnt 0x0
.LBB8_81:                               ;   in Loop: Header=BB8_33 Depth=1
	global_load_b64 v[22:23], v5, s[0:1]
.LBB8_82:                               ;   in Loop: Header=BB8_33 Depth=1
	s_wait_xcnt 0x0
	v_readfirstlane_b32 s0, v32
	v_mov_b64_e32 v[28:29], 0
	s_delay_alu instid0(VALU_DEP_2)
	v_cmp_eq_u32_e64 s0, s0, v32
	s_and_saveexec_b32 s1, s0
	s_cbranch_execz .LBB8_88
; %bb.83:                               ;   in Loop: Header=BB8_33 Depth=1
	global_load_b64 v[26:27], v5, s[2:3] offset:24 scope:SCOPE_SYS
	s_wait_loadcnt 0x0
	global_inv scope:SCOPE_SYS
	s_clause 0x1
	global_load_b64 v[24:25], v5, s[2:3] offset:40
	global_load_b64 v[28:29], v5, s[2:3]
	s_mov_b32 s10, exec_lo
	s_wait_loadcnt 0x1
	v_and_b32_e32 v24, v24, v26
	v_and_b32_e32 v25, v25, v27
	s_delay_alu instid0(VALU_DEP_1) | instskip(SKIP_1) | instid1(VALU_DEP_1)
	v_mul_u64_e32 v[24:25], 24, v[24:25]
	s_wait_loadcnt 0x0
	v_add_nc_u64_e32 v[24:25], v[28:29], v[24:25]
	global_load_b64 v[24:25], v[24:25], off scope:SCOPE_SYS
	s_wait_xcnt 0x0
	s_wait_loadcnt 0x0
	global_atomic_cmpswap_b64 v[28:29], v5, v[24:27], s[2:3] offset:24 th:TH_ATOMIC_RETURN scope:SCOPE_SYS
	s_wait_loadcnt 0x0
	global_inv scope:SCOPE_SYS
	s_wait_xcnt 0x0
	v_cmpx_ne_u64_e64 v[28:29], v[26:27]
	s_cbranch_execz .LBB8_87
; %bb.84:                               ;   in Loop: Header=BB8_33 Depth=1
	s_mov_b32 s11, 0
.LBB8_85:                               ;   Parent Loop BB8_33 Depth=1
                                        ; =>  This Inner Loop Header: Depth=2
	s_sleep 1
	s_clause 0x1
	global_load_b64 v[24:25], v5, s[2:3] offset:40
	global_load_b64 v[30:31], v5, s[2:3]
	v_mov_b64_e32 v[26:27], v[28:29]
	s_wait_loadcnt 0x1
	s_delay_alu instid0(VALU_DEP_1) | instskip(SKIP_1) | instid1(VALU_DEP_1)
	v_and_b32_e32 v1, v24, v26
	s_wait_loadcnt 0x0
	v_mad_nc_u64_u32 v[28:29], v1, 24, v[30:31]
	s_delay_alu instid0(VALU_DEP_3) | instskip(NEXT) | instid1(VALU_DEP_1)
	v_and_b32_e32 v1, v25, v27
	v_mad_u32 v29, v1, 24, v29
	global_load_b64 v[24:25], v[28:29], off scope:SCOPE_SYS
	s_wait_xcnt 0x0
	s_wait_loadcnt 0x0
	global_atomic_cmpswap_b64 v[28:29], v5, v[24:27], s[2:3] offset:24 th:TH_ATOMIC_RETURN scope:SCOPE_SYS
	s_wait_loadcnt 0x0
	global_inv scope:SCOPE_SYS
	v_cmp_eq_u64_e32 vcc_lo, v[28:29], v[26:27]
	s_or_b32 s11, vcc_lo, s11
	s_wait_xcnt 0x0
	s_and_not1_b32 exec_lo, exec_lo, s11
	s_cbranch_execnz .LBB8_85
; %bb.86:                               ;   in Loop: Header=BB8_33 Depth=1
	s_or_b32 exec_lo, exec_lo, s11
.LBB8_87:                               ;   in Loop: Header=BB8_33 Depth=1
	s_delay_alu instid0(SALU_CYCLE_1)
	s_or_b32 exec_lo, exec_lo, s10
.LBB8_88:                               ;   in Loop: Header=BB8_33 Depth=1
	s_delay_alu instid0(SALU_CYCLE_1)
	s_or_b32 exec_lo, exec_lo, s1
	s_clause 0x1
	global_load_b64 v[30:31], v5, s[2:3] offset:40
	global_load_b128 v[24:27], v5, s[2:3]
	v_readfirstlane_b32 s10, v28
	v_readfirstlane_b32 s11, v29
	s_mov_b32 s1, exec_lo
	s_wait_loadcnt 0x1
	v_and_b32_e32 v30, s10, v30
	v_and_b32_e32 v31, s11, v31
	s_delay_alu instid0(VALU_DEP_1) | instskip(SKIP_1) | instid1(VALU_DEP_1)
	v_mul_u64_e32 v[28:29], 24, v[30:31]
	s_wait_loadcnt 0x0
	v_add_nc_u64_e32 v[28:29], v[24:25], v[28:29]
	s_wait_xcnt 0x0
	s_and_saveexec_b32 s12, s0
	s_cbranch_execz .LBB8_90
; %bb.89:                               ;   in Loop: Header=BB8_33 Depth=1
	v_mov_b32_e32 v4, s1
	global_store_b128 v[28:29], v[4:7], off offset:8
.LBB8_90:                               ;   in Loop: Header=BB8_33 Depth=1
	s_wait_xcnt 0x0
	s_or_b32 exec_lo, exec_lo, s12
	v_cmp_gt_u64_e64 s1, s[6:7], 56
	v_lshlrev_b64_e32 v[30:31], 12, v[30:31]
	v_and_b32_e32 v1, 0xffffff1f, v8
	s_and_b32 s1, s1, exec_lo
	s_delay_alu instid0(VALU_DEP_2) | instskip(SKIP_4) | instid1(VALU_DEP_2)
	v_add_nc_u64_e32 v[26:27], v[26:27], v[30:31]
	s_cselect_b32 s1, 0, 2
	s_lshl_b32 s12, s8, 2
	v_or_b32_e32 v1, s1, v1
	s_add_co_i32 s1, s12, 28
	v_readfirstlane_b32 s12, v26
	s_delay_alu instid0(VALU_DEP_3) | instskip(NEXT) | instid1(VALU_DEP_3)
	v_readfirstlane_b32 s13, v27
	v_and_or_b32 v8, 0x1e0, s1, v1
	s_clause 0x3
	global_store_b128 v0, v[8:11], s[12:13]
	global_store_b128 v0, v[12:15], s[12:13] offset:16
	global_store_b128 v0, v[16:19], s[12:13] offset:32
	;; [unrolled: 1-line block ×3, first 2 shown]
	s_wait_xcnt 0x0
	s_and_saveexec_b32 s1, s0
	s_cbranch_execz .LBB8_98
; %bb.91:                               ;   in Loop: Header=BB8_33 Depth=1
	s_clause 0x1
	global_load_b64 v[16:17], v5, s[2:3] offset:32 scope:SCOPE_SYS
	global_load_b64 v[8:9], v5, s[2:3] offset:40
	s_mov_b32 s12, exec_lo
	v_dual_mov_b32 v14, s10 :: v_dual_mov_b32 v15, s11
	s_wait_loadcnt 0x0
	v_and_b32_e32 v9, s11, v9
	v_and_b32_e32 v8, s10, v8
	s_delay_alu instid0(VALU_DEP_1) | instskip(NEXT) | instid1(VALU_DEP_1)
	v_mul_u64_e32 v[8:9], 24, v[8:9]
	v_add_nc_u64_e32 v[12:13], v[24:25], v[8:9]
	global_store_b64 v[12:13], v[16:17], off
	global_wb scope:SCOPE_SYS
	s_wait_storecnt 0x0
	s_wait_xcnt 0x0
	global_atomic_cmpswap_b64 v[10:11], v5, v[14:17], s[2:3] offset:32 th:TH_ATOMIC_RETURN scope:SCOPE_SYS
	s_wait_loadcnt 0x0
	v_cmpx_ne_u64_e64 v[10:11], v[16:17]
	s_cbranch_execz .LBB8_94
; %bb.92:                               ;   in Loop: Header=BB8_33 Depth=1
	s_mov_b32 s13, 0
.LBB8_93:                               ;   Parent Loop BB8_33 Depth=1
                                        ; =>  This Inner Loop Header: Depth=2
	v_dual_mov_b32 v8, s10 :: v_dual_mov_b32 v9, s11
	s_sleep 1
	global_store_b64 v[12:13], v[10:11], off
	global_wb scope:SCOPE_SYS
	s_wait_storecnt 0x0
	s_wait_xcnt 0x0
	global_atomic_cmpswap_b64 v[8:9], v5, v[8:11], s[2:3] offset:32 th:TH_ATOMIC_RETURN scope:SCOPE_SYS
	s_wait_loadcnt 0x0
	v_cmp_eq_u64_e32 vcc_lo, v[8:9], v[10:11]
	v_mov_b64_e32 v[10:11], v[8:9]
	s_or_b32 s13, vcc_lo, s13
	s_delay_alu instid0(SALU_CYCLE_1)
	s_and_not1_b32 exec_lo, exec_lo, s13
	s_cbranch_execnz .LBB8_93
.LBB8_94:                               ;   in Loop: Header=BB8_33 Depth=1
	s_or_b32 exec_lo, exec_lo, s12
	global_load_b64 v[8:9], v5, s[2:3] offset:16
	s_mov_b32 s13, exec_lo
	s_mov_b32 s12, exec_lo
	v_mbcnt_lo_u32_b32 v1, s13, 0
	s_wait_xcnt 0x0
	s_delay_alu instid0(VALU_DEP_1)
	v_cmpx_eq_u32_e32 0, v1
	s_cbranch_execz .LBB8_96
; %bb.95:                               ;   in Loop: Header=BB8_33 Depth=1
	s_bcnt1_i32_b32 s13, s13
	s_delay_alu instid0(SALU_CYCLE_1)
	v_mov_b32_e32 v4, s13
	global_wb scope:SCOPE_SYS
	s_wait_loadcnt 0x0
	s_wait_storecnt 0x0
	global_atomic_add_u64 v[8:9], v[4:5], off offset:8 scope:SCOPE_SYS
.LBB8_96:                               ;   in Loop: Header=BB8_33 Depth=1
	s_wait_xcnt 0x0
	s_or_b32 exec_lo, exec_lo, s12
	s_wait_loadcnt 0x0
	global_load_b64 v[10:11], v[8:9], off offset:16
	s_wait_loadcnt 0x0
	v_cmp_eq_u64_e32 vcc_lo, 0, v[10:11]
	s_cbranch_vccnz .LBB8_98
; %bb.97:                               ;   in Loop: Header=BB8_33 Depth=1
	global_load_b32 v4, v[8:9], off offset:24
	s_wait_loadcnt 0x0
	v_readfirstlane_b32 s12, v4
	global_wb scope:SCOPE_SYS
	s_wait_storecnt 0x0
	s_wait_xcnt 0x0
	global_store_b64 v[10:11], v[4:5], off scope:SCOPE_SYS
	s_and_b32 m0, s12, 0xffffff
	s_sendmsg sendmsg(MSG_INTERRUPT)
.LBB8_98:                               ;   in Loop: Header=BB8_33 Depth=1
	s_wait_xcnt 0x0
	s_or_b32 exec_lo, exec_lo, s1
	v_mov_b32_e32 v1, v5
	s_delay_alu instid0(VALU_DEP_1)
	v_add_nc_u64_e32 v[8:9], v[26:27], v[0:1]
	s_branch .LBB8_102
.LBB8_99:                               ;   in Loop: Header=BB8_102 Depth=2
	s_wait_xcnt 0x0
	s_or_b32 exec_lo, exec_lo, s1
	s_delay_alu instid0(VALU_DEP_1)
	v_readfirstlane_b32 s1, v1
	s_cmp_eq_u32 s1, 0
	s_cbranch_scc1 .LBB8_101
; %bb.100:                              ;   in Loop: Header=BB8_102 Depth=2
	s_sleep 1
	s_cbranch_execnz .LBB8_102
	s_branch .LBB8_104
.LBB8_101:                              ;   in Loop: Header=BB8_33 Depth=1
	s_branch .LBB8_104
.LBB8_102:                              ;   Parent Loop BB8_33 Depth=1
                                        ; =>  This Inner Loop Header: Depth=2
	v_mov_b32_e32 v1, 1
	s_and_saveexec_b32 s1, s0
	s_cbranch_execz .LBB8_99
; %bb.103:                              ;   in Loop: Header=BB8_102 Depth=2
	global_load_b32 v1, v[28:29], off offset:20 scope:SCOPE_SYS
	s_wait_loadcnt 0x0
	global_inv scope:SCOPE_SYS
	v_and_b32_e32 v1, 1, v1
	s_branch .LBB8_99
.LBB8_104:                              ;   in Loop: Header=BB8_33 Depth=1
	global_load_b128 v[8:11], v[8:9], off
	s_wait_xcnt 0x0
	s_and_saveexec_b32 s12, s0
	s_cbranch_execz .LBB8_32
; %bb.105:                              ;   in Loop: Header=BB8_33 Depth=1
	s_wait_loadcnt 0x0
	s_clause 0x2
	global_load_b64 v[10:11], v5, s[2:3] offset:40
	global_load_b64 v[18:19], v5, s[2:3] offset:24 scope:SCOPE_SYS
	global_load_b64 v[12:13], v5, s[2:3]
	s_wait_loadcnt 0x2
	v_readfirstlane_b32 s14, v10
	v_readfirstlane_b32 s15, v11
	s_add_nc_u64 s[0:1], s[14:15], 1
	s_delay_alu instid0(SALU_CYCLE_1) | instskip(NEXT) | instid1(SALU_CYCLE_1)
	s_add_nc_u64 s[10:11], s[0:1], s[10:11]
	s_cmp_eq_u64 s[10:11], 0
	s_cselect_b32 s1, s1, s11
	s_cselect_b32 s0, s0, s10
	s_delay_alu instid0(SALU_CYCLE_1) | instskip(SKIP_1) | instid1(SALU_CYCLE_1)
	v_dual_mov_b32 v17, s1 :: v_dual_mov_b32 v16, s0
	s_and_b64 s[10:11], s[0:1], s[14:15]
	s_mul_u64 s[10:11], s[10:11], 24
	s_wait_loadcnt 0x0
	v_add_nc_u64_e32 v[14:15], s[10:11], v[12:13]
	global_store_b64 v[14:15], v[18:19], off
	global_wb scope:SCOPE_SYS
	s_wait_storecnt 0x0
	s_wait_xcnt 0x0
	global_atomic_cmpswap_b64 v[12:13], v5, v[16:19], s[2:3] offset:24 th:TH_ATOMIC_RETURN scope:SCOPE_SYS
	s_wait_loadcnt 0x0
	v_cmp_ne_u64_e32 vcc_lo, v[12:13], v[18:19]
	s_and_b32 exec_lo, exec_lo, vcc_lo
	s_cbranch_execz .LBB8_32
; %bb.106:                              ;   in Loop: Header=BB8_33 Depth=1
	s_mov_b32 s10, 0
.LBB8_107:                              ;   Parent Loop BB8_33 Depth=1
                                        ; =>  This Inner Loop Header: Depth=2
	v_dual_mov_b32 v10, s0 :: v_dual_mov_b32 v11, s1
	s_sleep 1
	global_store_b64 v[14:15], v[12:13], off
	global_wb scope:SCOPE_SYS
	s_wait_storecnt 0x0
	s_wait_xcnt 0x0
	global_atomic_cmpswap_b64 v[10:11], v5, v[10:13], s[2:3] offset:24 th:TH_ATOMIC_RETURN scope:SCOPE_SYS
	s_wait_loadcnt 0x0
	v_cmp_eq_u64_e32 vcc_lo, v[10:11], v[12:13]
	v_mov_b64_e32 v[12:13], v[10:11]
	s_or_b32 s10, vcc_lo, s10
	s_delay_alu instid0(SALU_CYCLE_1)
	s_and_not1_b32 exec_lo, exec_lo, s10
	s_cbranch_execnz .LBB8_107
	s_branch .LBB8_32
.LBB8_108:
	s_branch .LBB8_136
.LBB8_109:
	s_cbranch_execz .LBB8_136
; %bb.110:
	v_readfirstlane_b32 s0, v32
	s_wait_loadcnt 0x0
	v_mov_b64_e32 v[10:11], 0
	s_delay_alu instid0(VALU_DEP_2)
	v_cmp_eq_u32_e64 s0, s0, v32
	s_and_saveexec_b32 s1, s0
	s_cbranch_execz .LBB8_116
; %bb.111:
	v_mov_b32_e32 v1, 0
	s_mov_b32 s4, exec_lo
	global_load_b64 v[6:7], v1, s[2:3] offset:24 scope:SCOPE_SYS
	s_wait_loadcnt 0x0
	global_inv scope:SCOPE_SYS
	s_clause 0x1
	global_load_b64 v[4:5], v1, s[2:3] offset:40
	global_load_b64 v[8:9], v1, s[2:3]
	s_wait_loadcnt 0x1
	v_and_b32_e32 v4, v4, v6
	v_and_b32_e32 v5, v5, v7
	s_delay_alu instid0(VALU_DEP_1) | instskip(SKIP_1) | instid1(VALU_DEP_1)
	v_mul_u64_e32 v[4:5], 24, v[4:5]
	s_wait_loadcnt 0x0
	v_add_nc_u64_e32 v[4:5], v[8:9], v[4:5]
	global_load_b64 v[4:5], v[4:5], off scope:SCOPE_SYS
	s_wait_xcnt 0x0
	s_wait_loadcnt 0x0
	global_atomic_cmpswap_b64 v[10:11], v1, v[4:7], s[2:3] offset:24 th:TH_ATOMIC_RETURN scope:SCOPE_SYS
	s_wait_loadcnt 0x0
	global_inv scope:SCOPE_SYS
	s_wait_xcnt 0x0
	v_cmpx_ne_u64_e64 v[10:11], v[6:7]
	s_cbranch_execz .LBB8_115
; %bb.112:
	s_mov_b32 s5, 0
.LBB8_113:                              ; =>This Inner Loop Header: Depth=1
	s_sleep 1
	s_clause 0x1
	global_load_b64 v[4:5], v1, s[2:3] offset:40
	global_load_b64 v[8:9], v1, s[2:3]
	v_mov_b64_e32 v[6:7], v[10:11]
	s_wait_loadcnt 0x1
	s_delay_alu instid0(VALU_DEP_1) | instskip(SKIP_1) | instid1(VALU_DEP_1)
	v_and_b32_e32 v4, v4, v6
	s_wait_loadcnt 0x0
	v_mad_nc_u64_u32 v[8:9], v4, 24, v[8:9]
	s_delay_alu instid0(VALU_DEP_3) | instskip(NEXT) | instid1(VALU_DEP_1)
	v_and_b32_e32 v4, v5, v7
	v_mad_u32 v9, v4, 24, v9
	global_load_b64 v[4:5], v[8:9], off scope:SCOPE_SYS
	s_wait_xcnt 0x0
	s_wait_loadcnt 0x0
	global_atomic_cmpswap_b64 v[10:11], v1, v[4:7], s[2:3] offset:24 th:TH_ATOMIC_RETURN scope:SCOPE_SYS
	s_wait_loadcnt 0x0
	global_inv scope:SCOPE_SYS
	v_cmp_eq_u64_e32 vcc_lo, v[10:11], v[6:7]
	s_or_b32 s5, vcc_lo, s5
	s_wait_xcnt 0x0
	s_and_not1_b32 exec_lo, exec_lo, s5
	s_cbranch_execnz .LBB8_113
; %bb.114:
	s_or_b32 exec_lo, exec_lo, s5
.LBB8_115:
	s_delay_alu instid0(SALU_CYCLE_1)
	s_or_b32 exec_lo, exec_lo, s4
.LBB8_116:
	s_delay_alu instid0(SALU_CYCLE_1)
	s_or_b32 exec_lo, exec_lo, s1
	v_readfirstlane_b32 s4, v10
	v_mov_b32_e32 v4, 0
	v_readfirstlane_b32 s5, v11
	s_mov_b32 s1, exec_lo
	s_clause 0x1
	global_load_b64 v[12:13], v4, s[2:3] offset:40
	global_load_b128 v[6:9], v4, s[2:3]
	s_wait_loadcnt 0x1
	v_and_b32_e32 v12, s4, v12
	v_and_b32_e32 v13, s5, v13
	s_delay_alu instid0(VALU_DEP_1) | instskip(SKIP_1) | instid1(VALU_DEP_1)
	v_mul_u64_e32 v[10:11], 24, v[12:13]
	s_wait_loadcnt 0x0
	v_add_nc_u64_e32 v[10:11], v[6:7], v[10:11]
	s_wait_xcnt 0x0
	s_and_saveexec_b32 s6, s0
	s_cbranch_execz .LBB8_118
; %bb.117:
	v_mov_b64_e32 v[16:17], 0x100000002
	v_dual_mov_b32 v14, s1 :: v_dual_mov_b32 v15, v4
	global_store_b128 v[10:11], v[14:17], off offset:8
.LBB8_118:
	s_wait_xcnt 0x0
	s_or_b32 exec_lo, exec_lo, s6
	v_lshlrev_b64_e32 v[12:13], 12, v[12:13]
	s_mov_b32 s8, 0
	v_and_or_b32 v2, 0xffffff1d, v2, 34
	s_mov_b32 s10, s8
	s_mov_b32 s11, s8
	;; [unrolled: 1-line block ×3, first 2 shown]
	v_mov_b32_e32 v5, v4
	v_add_nc_u64_e32 v[8:9], v[8:9], v[12:13]
	v_mov_b64_e32 v[14:15], s[10:11]
	v_mov_b64_e32 v[12:13], s[8:9]
	s_delay_alu instid0(VALU_DEP_3) | instskip(NEXT) | instid1(VALU_DEP_4)
	v_readfirstlane_b32 s6, v8
	v_readfirstlane_b32 s7, v9
	s_clause 0x3
	global_store_b128 v0, v[2:5], s[6:7]
	global_store_b128 v0, v[12:15], s[6:7] offset:16
	global_store_b128 v0, v[12:15], s[6:7] offset:32
	;; [unrolled: 1-line block ×3, first 2 shown]
	s_wait_xcnt 0x0
	s_and_saveexec_b32 s1, s0
	s_cbranch_execz .LBB8_126
; %bb.119:
	v_dual_mov_b32 v8, 0 :: v_dual_mov_b32 v13, s5
	s_mov_b32 s6, exec_lo
	s_clause 0x1
	global_load_b64 v[14:15], v8, s[2:3] offset:32 scope:SCOPE_SYS
	global_load_b64 v[0:1], v8, s[2:3] offset:40
	s_wait_loadcnt 0x0
	v_dual_mov_b32 v12, s4 :: v_dual_bitop2_b32 v1, s5, v1 bitop3:0x40
	v_and_b32_e32 v0, s4, v0
	s_delay_alu instid0(VALU_DEP_1) | instskip(NEXT) | instid1(VALU_DEP_1)
	v_mul_u64_e32 v[0:1], 24, v[0:1]
	v_add_nc_u64_e32 v[4:5], v[6:7], v[0:1]
	global_store_b64 v[4:5], v[14:15], off
	global_wb scope:SCOPE_SYS
	s_wait_storecnt 0x0
	s_wait_xcnt 0x0
	global_atomic_cmpswap_b64 v[2:3], v8, v[12:15], s[2:3] offset:32 th:TH_ATOMIC_RETURN scope:SCOPE_SYS
	s_wait_loadcnt 0x0
	v_cmpx_ne_u64_e64 v[2:3], v[14:15]
	s_cbranch_execz .LBB8_122
; %bb.120:
	s_mov_b32 s7, 0
.LBB8_121:                              ; =>This Inner Loop Header: Depth=1
	v_dual_mov_b32 v0, s4 :: v_dual_mov_b32 v1, s5
	s_sleep 1
	global_store_b64 v[4:5], v[2:3], off
	global_wb scope:SCOPE_SYS
	s_wait_storecnt 0x0
	s_wait_xcnt 0x0
	global_atomic_cmpswap_b64 v[0:1], v8, v[0:3], s[2:3] offset:32 th:TH_ATOMIC_RETURN scope:SCOPE_SYS
	s_wait_loadcnt 0x0
	v_cmp_eq_u64_e32 vcc_lo, v[0:1], v[2:3]
	v_mov_b64_e32 v[2:3], v[0:1]
	s_or_b32 s7, vcc_lo, s7
	s_delay_alu instid0(SALU_CYCLE_1)
	s_and_not1_b32 exec_lo, exec_lo, s7
	s_cbranch_execnz .LBB8_121
.LBB8_122:
	s_or_b32 exec_lo, exec_lo, s6
	v_mov_b32_e32 v3, 0
	s_mov_b32 s7, exec_lo
	s_mov_b32 s6, exec_lo
	v_mbcnt_lo_u32_b32 v2, s7, 0
	global_load_b64 v[0:1], v3, s[2:3] offset:16
	s_wait_xcnt 0x0
	v_cmpx_eq_u32_e32 0, v2
	s_cbranch_execz .LBB8_124
; %bb.123:
	s_bcnt1_i32_b32 s7, s7
	s_delay_alu instid0(SALU_CYCLE_1)
	v_mov_b32_e32 v2, s7
	global_wb scope:SCOPE_SYS
	s_wait_loadcnt 0x0
	s_wait_storecnt 0x0
	global_atomic_add_u64 v[0:1], v[2:3], off offset:8 scope:SCOPE_SYS
.LBB8_124:
	s_wait_xcnt 0x0
	s_or_b32 exec_lo, exec_lo, s6
	s_wait_loadcnt 0x0
	global_load_b64 v[2:3], v[0:1], off offset:16
	s_wait_loadcnt 0x0
	v_cmp_eq_u64_e32 vcc_lo, 0, v[2:3]
	s_cbranch_vccnz .LBB8_126
; %bb.125:
	global_load_b32 v0, v[0:1], off offset:24
	s_wait_xcnt 0x0
	v_mov_b32_e32 v1, 0
	s_wait_loadcnt 0x0
	v_readfirstlane_b32 s6, v0
	global_wb scope:SCOPE_SYS
	s_wait_storecnt 0x0
	global_store_b64 v[2:3], v[0:1], off scope:SCOPE_SYS
	s_and_b32 m0, s6, 0xffffff
	s_sendmsg sendmsg(MSG_INTERRUPT)
.LBB8_126:
	s_wait_xcnt 0x0
	s_or_b32 exec_lo, exec_lo, s1
	s_branch .LBB8_130
.LBB8_127:                              ;   in Loop: Header=BB8_130 Depth=1
	s_wait_xcnt 0x0
	s_or_b32 exec_lo, exec_lo, s1
	s_delay_alu instid0(VALU_DEP_1)
	v_readfirstlane_b32 s1, v0
	s_cmp_eq_u32 s1, 0
	s_cbranch_scc1 .LBB8_129
; %bb.128:                              ;   in Loop: Header=BB8_130 Depth=1
	s_sleep 1
	s_cbranch_execnz .LBB8_130
	s_branch .LBB8_132
.LBB8_129:
	s_branch .LBB8_132
.LBB8_130:                              ; =>This Inner Loop Header: Depth=1
	v_mov_b32_e32 v0, 1
	s_and_saveexec_b32 s1, s0
	s_cbranch_execz .LBB8_127
; %bb.131:                              ;   in Loop: Header=BB8_130 Depth=1
	global_load_b32 v0, v[10:11], off offset:20 scope:SCOPE_SYS
	s_wait_loadcnt 0x0
	global_inv scope:SCOPE_SYS
	v_and_b32_e32 v0, 1, v0
	s_branch .LBB8_127
.LBB8_132:
	s_and_saveexec_b32 s1, s0
	s_cbranch_execz .LBB8_136
; %bb.133:
	v_mov_b32_e32 v6, 0
	s_clause 0x2
	global_load_b64 v[0:1], v6, s[2:3] offset:40
	global_load_b64 v[10:11], v6, s[2:3] offset:24 scope:SCOPE_SYS
	global_load_b64 v[2:3], v6, s[2:3]
	s_wait_loadcnt 0x2
	v_readfirstlane_b32 s6, v0
	v_readfirstlane_b32 s7, v1
	s_add_nc_u64 s[0:1], s[6:7], 1
	s_delay_alu instid0(SALU_CYCLE_1) | instskip(NEXT) | instid1(SALU_CYCLE_1)
	s_add_nc_u64 s[4:5], s[0:1], s[4:5]
	s_cmp_eq_u64 s[4:5], 0
	s_cselect_b32 s1, s1, s5
	s_cselect_b32 s0, s0, s4
	v_mov_b32_e32 v9, s1
	s_and_b64 s[4:5], s[0:1], s[6:7]
	v_mov_b32_e32 v8, s0
	s_mul_u64 s[4:5], s[4:5], 24
	s_wait_loadcnt 0x0
	v_add_nc_u64_e32 v[4:5], s[4:5], v[2:3]
	global_store_b64 v[4:5], v[10:11], off
	global_wb scope:SCOPE_SYS
	s_wait_storecnt 0x0
	s_wait_xcnt 0x0
	global_atomic_cmpswap_b64 v[2:3], v6, v[8:11], s[2:3] offset:24 th:TH_ATOMIC_RETURN scope:SCOPE_SYS
	s_wait_loadcnt 0x0
	v_cmp_ne_u64_e32 vcc_lo, v[2:3], v[10:11]
	s_and_b32 exec_lo, exec_lo, vcc_lo
	s_cbranch_execz .LBB8_136
; %bb.134:
	s_mov_b32 s4, 0
.LBB8_135:                              ; =>This Inner Loop Header: Depth=1
	v_dual_mov_b32 v0, s0 :: v_dual_mov_b32 v1, s1
	s_sleep 1
	global_store_b64 v[4:5], v[2:3], off
	global_wb scope:SCOPE_SYS
	s_wait_storecnt 0x0
	s_wait_xcnt 0x0
	global_atomic_cmpswap_b64 v[0:1], v6, v[0:3], s[2:3] offset:24 th:TH_ATOMIC_RETURN scope:SCOPE_SYS
	s_wait_loadcnt 0x0
	v_cmp_eq_u64_e32 vcc_lo, v[0:1], v[2:3]
	v_mov_b64_e32 v[2:3], v[0:1]
	s_or_b32 s4, vcc_lo, s4
	s_delay_alu instid0(SALU_CYCLE_1)
	s_and_not1_b32 exec_lo, exec_lo, s4
	s_cbranch_execnz .LBB8_135
.LBB8_136:
	s_endpgm
	.section	.rodata,"a",@progbits
	.p2align	6, 0x0
	.amdhsa_kernel _ZN2at6native30tinygemm_m16n8k16_chunk_kernelINS0_10ALayout_RMILNS0_14KReductionTypeE0EEENS0_15BLayout_TC_int4ILi8ELi128EEES4_Li8ELi8EEEvPKvS8_S8_Pviiiiii
		.amdhsa_group_segment_fixed_size 0
		.amdhsa_private_segment_fixed_size 0
		.amdhsa_kernarg_size 312
		.amdhsa_user_sgpr_count 2
		.amdhsa_user_sgpr_dispatch_ptr 0
		.amdhsa_user_sgpr_queue_ptr 0
		.amdhsa_user_sgpr_kernarg_segment_ptr 1
		.amdhsa_user_sgpr_dispatch_id 0
		.amdhsa_user_sgpr_kernarg_preload_length 0
		.amdhsa_user_sgpr_kernarg_preload_offset 0
		.amdhsa_user_sgpr_private_segment_size 0
		.amdhsa_wavefront_size32 1
		.amdhsa_uses_dynamic_stack 0
		.amdhsa_enable_private_segment 0
		.amdhsa_system_sgpr_workgroup_id_x 1
		.amdhsa_system_sgpr_workgroup_id_y 0
		.amdhsa_system_sgpr_workgroup_id_z 0
		.amdhsa_system_sgpr_workgroup_info 0
		.amdhsa_system_vgpr_workitem_id 0
		.amdhsa_next_free_vgpr 33
		.amdhsa_next_free_sgpr 18
		.amdhsa_named_barrier_count 0
		.amdhsa_reserve_vcc 1
		.amdhsa_float_round_mode_32 0
		.amdhsa_float_round_mode_16_64 0
		.amdhsa_float_denorm_mode_32 3
		.amdhsa_float_denorm_mode_16_64 3
		.amdhsa_fp16_overflow 0
		.amdhsa_memory_ordered 1
		.amdhsa_forward_progress 1
		.amdhsa_inst_pref_size 43
		.amdhsa_round_robin_scheduling 0
		.amdhsa_exception_fp_ieee_invalid_op 0
		.amdhsa_exception_fp_denorm_src 0
		.amdhsa_exception_fp_ieee_div_zero 0
		.amdhsa_exception_fp_ieee_overflow 0
		.amdhsa_exception_fp_ieee_underflow 0
		.amdhsa_exception_fp_ieee_inexact 0
		.amdhsa_exception_int_div_zero 0
	.end_amdhsa_kernel
	.section	.text._ZN2at6native30tinygemm_m16n8k16_chunk_kernelINS0_10ALayout_RMILNS0_14KReductionTypeE0EEENS0_15BLayout_TC_int4ILi8ELi128EEES4_Li8ELi8EEEvPKvS8_S8_Pviiiiii,"axG",@progbits,_ZN2at6native30tinygemm_m16n8k16_chunk_kernelINS0_10ALayout_RMILNS0_14KReductionTypeE0EEENS0_15BLayout_TC_int4ILi8ELi128EEES4_Li8ELi8EEEvPKvS8_S8_Pviiiiii,comdat
.Lfunc_end8:
	.size	_ZN2at6native30tinygemm_m16n8k16_chunk_kernelINS0_10ALayout_RMILNS0_14KReductionTypeE0EEENS0_15BLayout_TC_int4ILi8ELi128EEES4_Li8ELi8EEEvPKvS8_S8_Pviiiiii, .Lfunc_end8-_ZN2at6native30tinygemm_m16n8k16_chunk_kernelINS0_10ALayout_RMILNS0_14KReductionTypeE0EEENS0_15BLayout_TC_int4ILi8ELi128EEES4_Li8ELi8EEEvPKvS8_S8_Pviiiiii
                                        ; -- End function
	.set _ZN2at6native30tinygemm_m16n8k16_chunk_kernelINS0_10ALayout_RMILNS0_14KReductionTypeE0EEENS0_15BLayout_TC_int4ILi8ELi128EEES4_Li8ELi8EEEvPKvS8_S8_Pviiiiii.num_vgpr, 33
	.set _ZN2at6native30tinygemm_m16n8k16_chunk_kernelINS0_10ALayout_RMILNS0_14KReductionTypeE0EEENS0_15BLayout_TC_int4ILi8ELi128EEES4_Li8ELi8EEEvPKvS8_S8_Pviiiiii.num_agpr, 0
	.set _ZN2at6native30tinygemm_m16n8k16_chunk_kernelINS0_10ALayout_RMILNS0_14KReductionTypeE0EEENS0_15BLayout_TC_int4ILi8ELi128EEES4_Li8ELi8EEEvPKvS8_S8_Pviiiiii.numbered_sgpr, 18
	.set _ZN2at6native30tinygemm_m16n8k16_chunk_kernelINS0_10ALayout_RMILNS0_14KReductionTypeE0EEENS0_15BLayout_TC_int4ILi8ELi128EEES4_Li8ELi8EEEvPKvS8_S8_Pviiiiii.num_named_barrier, 0
	.set _ZN2at6native30tinygemm_m16n8k16_chunk_kernelINS0_10ALayout_RMILNS0_14KReductionTypeE0EEENS0_15BLayout_TC_int4ILi8ELi128EEES4_Li8ELi8EEEvPKvS8_S8_Pviiiiii.private_seg_size, 0
	.set _ZN2at6native30tinygemm_m16n8k16_chunk_kernelINS0_10ALayout_RMILNS0_14KReductionTypeE0EEENS0_15BLayout_TC_int4ILi8ELi128EEES4_Li8ELi8EEEvPKvS8_S8_Pviiiiii.uses_vcc, 1
	.set _ZN2at6native30tinygemm_m16n8k16_chunk_kernelINS0_10ALayout_RMILNS0_14KReductionTypeE0EEENS0_15BLayout_TC_int4ILi8ELi128EEES4_Li8ELi8EEEvPKvS8_S8_Pviiiiii.uses_flat_scratch, 0
	.set _ZN2at6native30tinygemm_m16n8k16_chunk_kernelINS0_10ALayout_RMILNS0_14KReductionTypeE0EEENS0_15BLayout_TC_int4ILi8ELi128EEES4_Li8ELi8EEEvPKvS8_S8_Pviiiiii.has_dyn_sized_stack, 0
	.set _ZN2at6native30tinygemm_m16n8k16_chunk_kernelINS0_10ALayout_RMILNS0_14KReductionTypeE0EEENS0_15BLayout_TC_int4ILi8ELi128EEES4_Li8ELi8EEEvPKvS8_S8_Pviiiiii.has_recursion, 0
	.set _ZN2at6native30tinygemm_m16n8k16_chunk_kernelINS0_10ALayout_RMILNS0_14KReductionTypeE0EEENS0_15BLayout_TC_int4ILi8ELi128EEES4_Li8ELi8EEEvPKvS8_S8_Pviiiiii.has_indirect_call, 0
	.section	.AMDGPU.csdata,"",@progbits
; Kernel info:
; codeLenInByte = 5440
; TotalNumSgprs: 20
; NumVgprs: 33
; ScratchSize: 0
; MemoryBound: 0
; FloatMode: 240
; IeeeMode: 1
; LDSByteSize: 0 bytes/workgroup (compile time only)
; SGPRBlocks: 0
; VGPRBlocks: 2
; NumSGPRsForWavesPerEU: 20
; NumVGPRsForWavesPerEU: 33
; NamedBarCnt: 0
; Occupancy: 16
; WaveLimiterHint : 1
; COMPUTE_PGM_RSRC2:SCRATCH_EN: 0
; COMPUTE_PGM_RSRC2:USER_SGPR: 2
; COMPUTE_PGM_RSRC2:TRAP_HANDLER: 0
; COMPUTE_PGM_RSRC2:TGID_X_EN: 1
; COMPUTE_PGM_RSRC2:TGID_Y_EN: 0
; COMPUTE_PGM_RSRC2:TGID_Z_EN: 0
; COMPUTE_PGM_RSRC2:TIDIG_COMP_CNT: 0
	.section	.text._ZN2at6native30tinygemm_m16n8k16_chunk_kernelINS0_10ALayout_RMILNS0_14KReductionTypeE0EEENS0_15BLayout_TC_int4ILi2ELi256EEES4_Li8ELi8EEEvPKvS8_S8_Pviiiiii,"axG",@progbits,_ZN2at6native30tinygemm_m16n8k16_chunk_kernelINS0_10ALayout_RMILNS0_14KReductionTypeE0EEENS0_15BLayout_TC_int4ILi2ELi256EEES4_Li8ELi8EEEvPKvS8_S8_Pviiiiii,comdat
	.protected	_ZN2at6native30tinygemm_m16n8k16_chunk_kernelINS0_10ALayout_RMILNS0_14KReductionTypeE0EEENS0_15BLayout_TC_int4ILi2ELi256EEES4_Li8ELi8EEEvPKvS8_S8_Pviiiiii ; -- Begin function _ZN2at6native30tinygemm_m16n8k16_chunk_kernelINS0_10ALayout_RMILNS0_14KReductionTypeE0EEENS0_15BLayout_TC_int4ILi2ELi256EEES4_Li8ELi8EEEvPKvS8_S8_Pviiiiii
	.globl	_ZN2at6native30tinygemm_m16n8k16_chunk_kernelINS0_10ALayout_RMILNS0_14KReductionTypeE0EEENS0_15BLayout_TC_int4ILi2ELi256EEES4_Li8ELi8EEEvPKvS8_S8_Pviiiiii
	.p2align	8
	.type	_ZN2at6native30tinygemm_m16n8k16_chunk_kernelINS0_10ALayout_RMILNS0_14KReductionTypeE0EEENS0_15BLayout_TC_int4ILi2ELi256EEES4_Li8ELi8EEEvPKvS8_S8_Pviiiiii,@function
_ZN2at6native30tinygemm_m16n8k16_chunk_kernelINS0_10ALayout_RMILNS0_14KReductionTypeE0EEENS0_15BLayout_TC_int4ILi2ELi256EEES4_Li8ELi8EEEvPKvS8_S8_Pviiiiii: ; @_ZN2at6native30tinygemm_m16n8k16_chunk_kernelINS0_10ALayout_RMILNS0_14KReductionTypeE0EEENS0_15BLayout_TC_int4ILi2ELi256EEES4_Li8ELi8EEEvPKvS8_S8_Pviiiiii
; %bb.0:
	s_load_b64 s[2:3], s[0:1], 0x88
	v_mbcnt_lo_u32_b32 v32, -1, 0
	v_mov_b64_e32 v[2:3], 0
	s_wait_xcnt 0x0
	s_delay_alu instid0(VALU_DEP_2) | instskip(NEXT) | instid1(VALU_DEP_1)
	v_readfirstlane_b32 s0, v32
	v_cmp_eq_u32_e64 s0, s0, v32
	s_and_saveexec_b32 s1, s0
	s_cbranch_execz .LBB9_6
; %bb.1:
	v_mov_b32_e32 v0, 0
	s_mov_b32 s4, exec_lo
	s_wait_kmcnt 0x0
	global_load_b64 v[4:5], v0, s[2:3] offset:24 scope:SCOPE_SYS
	s_wait_loadcnt 0x0
	global_inv scope:SCOPE_SYS
	s_clause 0x1
	global_load_b64 v[2:3], v0, s[2:3] offset:40
	global_load_b64 v[6:7], v0, s[2:3]
	s_wait_loadcnt 0x1
	v_and_b32_e32 v2, v2, v4
	v_and_b32_e32 v3, v3, v5
	s_delay_alu instid0(VALU_DEP_1) | instskip(SKIP_1) | instid1(VALU_DEP_1)
	v_mul_u64_e32 v[2:3], 24, v[2:3]
	s_wait_loadcnt 0x0
	v_add_nc_u64_e32 v[2:3], v[6:7], v[2:3]
	global_load_b64 v[2:3], v[2:3], off scope:SCOPE_SYS
	s_wait_xcnt 0x0
	s_wait_loadcnt 0x0
	global_atomic_cmpswap_b64 v[2:3], v0, v[2:5], s[2:3] offset:24 th:TH_ATOMIC_RETURN scope:SCOPE_SYS
	s_wait_loadcnt 0x0
	global_inv scope:SCOPE_SYS
	s_wait_xcnt 0x0
	v_cmpx_ne_u64_e64 v[2:3], v[4:5]
	s_cbranch_execz .LBB9_5
; %bb.2:
	s_mov_b32 s5, 0
.LBB9_3:                                ; =>This Inner Loop Header: Depth=1
	s_sleep 1
	s_clause 0x1
	global_load_b64 v[6:7], v0, s[2:3] offset:40
	global_load_b64 v[8:9], v0, s[2:3]
	v_mov_b64_e32 v[4:5], v[2:3]
	s_wait_loadcnt 0x1
	s_delay_alu instid0(VALU_DEP_1) | instskip(SKIP_1) | instid1(VALU_DEP_1)
	v_and_b32_e32 v1, v6, v4
	s_wait_loadcnt 0x0
	v_mad_nc_u64_u32 v[2:3], v1, 24, v[8:9]
	s_delay_alu instid0(VALU_DEP_3) | instskip(NEXT) | instid1(VALU_DEP_1)
	v_and_b32_e32 v1, v7, v5
	v_mad_u32 v3, v1, 24, v3
	global_load_b64 v[2:3], v[2:3], off scope:SCOPE_SYS
	s_wait_xcnt 0x0
	s_wait_loadcnt 0x0
	global_atomic_cmpswap_b64 v[2:3], v0, v[2:5], s[2:3] offset:24 th:TH_ATOMIC_RETURN scope:SCOPE_SYS
	s_wait_loadcnt 0x0
	global_inv scope:SCOPE_SYS
	v_cmp_eq_u64_e32 vcc_lo, v[2:3], v[4:5]
	s_or_b32 s5, vcc_lo, s5
	s_wait_xcnt 0x0
	s_and_not1_b32 exec_lo, exec_lo, s5
	s_cbranch_execnz .LBB9_3
; %bb.4:
	s_or_b32 exec_lo, exec_lo, s5
.LBB9_5:
	s_delay_alu instid0(SALU_CYCLE_1)
	s_or_b32 exec_lo, exec_lo, s4
.LBB9_6:
	s_delay_alu instid0(SALU_CYCLE_1)
	s_or_b32 exec_lo, exec_lo, s1
	v_readfirstlane_b32 s4, v2
	v_mov_b32_e32 v1, 0
	v_readfirstlane_b32 s5, v3
	s_mov_b32 s1, exec_lo
	s_wait_kmcnt 0x0
	s_clause 0x1
	global_load_b64 v[8:9], v1, s[2:3] offset:40
	global_load_b128 v[4:7], v1, s[2:3]
	s_wait_loadcnt 0x1
	v_and_b32_e32 v10, s4, v8
	v_and_b32_e32 v11, s5, v9
	s_delay_alu instid0(VALU_DEP_1) | instskip(SKIP_1) | instid1(VALU_DEP_1)
	v_mul_u64_e32 v[2:3], 24, v[10:11]
	s_wait_loadcnt 0x0
	v_add_nc_u64_e32 v[8:9], v[4:5], v[2:3]
	s_and_saveexec_b32 s6, s0
	s_cbranch_execz .LBB9_8
; %bb.7:
	v_mov_b64_e32 v[2:3], 0x100000002
	v_mov_b32_e32 v0, s1
	global_store_b128 v[8:9], v[0:3], off offset:8
.LBB9_8:
	s_wait_xcnt 0x0
	s_or_b32 exec_lo, exec_lo, s6
	v_lshlrev_b64_e32 v[2:3], 12, v[10:11]
	s_mov_b32 s8, 0
	v_dual_lshlrev_b32 v0, 6, v32 :: v_dual_mov_b32 v10, 33
	s_mov_b32 s10, s8
	s_mov_b32 s11, s8
	;; [unrolled: 1-line block ×3, first 2 shown]
	s_delay_alu instid0(VALU_DEP_2)
	v_add_nc_u64_e32 v[6:7], v[6:7], v[2:3]
	v_mov_b64_e32 v[16:17], s[10:11]
	v_mov_b64_e32 v[14:15], s[8:9]
	v_dual_mov_b32 v11, v1 :: v_dual_mov_b32 v12, v1
	v_mov_b32_e32 v13, v1
	v_readfirstlane_b32 s6, v6
	v_readfirstlane_b32 s7, v7
	s_clause 0x3
	global_store_b128 v0, v[10:13], s[6:7]
	global_store_b128 v0, v[14:17], s[6:7] offset:16
	global_store_b128 v0, v[14:17], s[6:7] offset:32
	;; [unrolled: 1-line block ×3, first 2 shown]
	s_wait_xcnt 0x0
	s_and_saveexec_b32 s1, s0
	s_cbranch_execz .LBB9_16
; %bb.9:
	v_dual_mov_b32 v12, 0 :: v_dual_mov_b32 v15, s5
	s_mov_b32 s6, exec_lo
	s_clause 0x1
	global_load_b64 v[16:17], v12, s[2:3] offset:32 scope:SCOPE_SYS
	global_load_b64 v[2:3], v12, s[2:3] offset:40
	s_wait_loadcnt 0x0
	v_dual_mov_b32 v14, s4 :: v_dual_bitop2_b32 v3, s5, v3 bitop3:0x40
	v_and_b32_e32 v2, s4, v2
	s_delay_alu instid0(VALU_DEP_1) | instskip(NEXT) | instid1(VALU_DEP_1)
	v_mul_u64_e32 v[2:3], 24, v[2:3]
	v_add_nc_u64_e32 v[10:11], v[4:5], v[2:3]
	global_store_b64 v[10:11], v[16:17], off
	global_wb scope:SCOPE_SYS
	s_wait_storecnt 0x0
	s_wait_xcnt 0x0
	global_atomic_cmpswap_b64 v[4:5], v12, v[14:17], s[2:3] offset:32 th:TH_ATOMIC_RETURN scope:SCOPE_SYS
	s_wait_loadcnt 0x0
	v_cmpx_ne_u64_e64 v[4:5], v[16:17]
	s_cbranch_execz .LBB9_12
; %bb.10:
	s_mov_b32 s7, 0
.LBB9_11:                               ; =>This Inner Loop Header: Depth=1
	v_dual_mov_b32 v2, s4 :: v_dual_mov_b32 v3, s5
	s_sleep 1
	global_store_b64 v[10:11], v[4:5], off
	global_wb scope:SCOPE_SYS
	s_wait_storecnt 0x0
	s_wait_xcnt 0x0
	global_atomic_cmpswap_b64 v[2:3], v12, v[2:5], s[2:3] offset:32 th:TH_ATOMIC_RETURN scope:SCOPE_SYS
	s_wait_loadcnt 0x0
	v_cmp_eq_u64_e32 vcc_lo, v[2:3], v[4:5]
	v_mov_b64_e32 v[4:5], v[2:3]
	s_or_b32 s7, vcc_lo, s7
	s_delay_alu instid0(SALU_CYCLE_1)
	s_and_not1_b32 exec_lo, exec_lo, s7
	s_cbranch_execnz .LBB9_11
.LBB9_12:
	s_or_b32 exec_lo, exec_lo, s6
	v_mov_b32_e32 v5, 0
	s_mov_b32 s7, exec_lo
	s_mov_b32 s6, exec_lo
	v_mbcnt_lo_u32_b32 v4, s7, 0
	global_load_b64 v[2:3], v5, s[2:3] offset:16
	s_wait_xcnt 0x0
	v_cmpx_eq_u32_e32 0, v4
	s_cbranch_execz .LBB9_14
; %bb.13:
	s_bcnt1_i32_b32 s7, s7
	s_delay_alu instid0(SALU_CYCLE_1)
	v_mov_b32_e32 v4, s7
	global_wb scope:SCOPE_SYS
	s_wait_loadcnt 0x0
	s_wait_storecnt 0x0
	global_atomic_add_u64 v[2:3], v[4:5], off offset:8 scope:SCOPE_SYS
.LBB9_14:
	s_wait_xcnt 0x0
	s_or_b32 exec_lo, exec_lo, s6
	s_wait_loadcnt 0x0
	global_load_b64 v[4:5], v[2:3], off offset:16
	s_wait_loadcnt 0x0
	v_cmp_eq_u64_e32 vcc_lo, 0, v[4:5]
	s_cbranch_vccnz .LBB9_16
; %bb.15:
	global_load_b32 v2, v[2:3], off offset:24
	s_wait_xcnt 0x0
	v_mov_b32_e32 v3, 0
	s_wait_loadcnt 0x0
	v_readfirstlane_b32 s6, v2
	global_wb scope:SCOPE_SYS
	s_wait_storecnt 0x0
	global_store_b64 v[4:5], v[2:3], off scope:SCOPE_SYS
	s_and_b32 m0, s6, 0xffffff
	s_sendmsg sendmsg(MSG_INTERRUPT)
.LBB9_16:
	s_wait_xcnt 0x0
	s_or_b32 exec_lo, exec_lo, s1
	v_add_nc_u64_e32 v[2:3], v[6:7], v[0:1]
	s_branch .LBB9_20
.LBB9_17:                               ;   in Loop: Header=BB9_20 Depth=1
	s_wait_xcnt 0x0
	s_or_b32 exec_lo, exec_lo, s1
	s_delay_alu instid0(VALU_DEP_1)
	v_readfirstlane_b32 s1, v1
	s_cmp_eq_u32 s1, 0
	s_cbranch_scc1 .LBB9_19
; %bb.18:                               ;   in Loop: Header=BB9_20 Depth=1
	s_sleep 1
	s_cbranch_execnz .LBB9_20
	s_branch .LBB9_22
.LBB9_19:
	s_branch .LBB9_22
.LBB9_20:                               ; =>This Inner Loop Header: Depth=1
	v_mov_b32_e32 v1, 1
	s_and_saveexec_b32 s1, s0
	s_cbranch_execz .LBB9_17
; %bb.21:                               ;   in Loop: Header=BB9_20 Depth=1
	global_load_b32 v1, v[8:9], off offset:20 scope:SCOPE_SYS
	s_wait_loadcnt 0x0
	global_inv scope:SCOPE_SYS
	v_and_b32_e32 v1, 1, v1
	s_branch .LBB9_17
.LBB9_22:
	global_load_b64 v[2:3], v[2:3], off
	s_wait_xcnt 0x0
	s_and_saveexec_b32 s6, s0
	s_cbranch_execz .LBB9_26
; %bb.23:
	v_mov_b32_e32 v1, 0
	s_clause 0x2
	global_load_b64 v[4:5], v1, s[2:3] offset:40
	global_load_b64 v[12:13], v1, s[2:3] offset:24 scope:SCOPE_SYS
	global_load_b64 v[6:7], v1, s[2:3]
	s_wait_loadcnt 0x2
	v_readfirstlane_b32 s8, v4
	v_readfirstlane_b32 s9, v5
	s_add_nc_u64 s[0:1], s[8:9], 1
	s_delay_alu instid0(SALU_CYCLE_1) | instskip(NEXT) | instid1(SALU_CYCLE_1)
	s_add_nc_u64 s[4:5], s[0:1], s[4:5]
	s_cmp_eq_u64 s[4:5], 0
	s_cselect_b32 s1, s1, s5
	s_cselect_b32 s0, s0, s4
	v_mov_b32_e32 v11, s1
	s_and_b64 s[4:5], s[0:1], s[8:9]
	v_mov_b32_e32 v10, s0
	s_mul_u64 s[4:5], s[4:5], 24
	s_wait_loadcnt 0x0
	v_add_nc_u64_e32 v[8:9], s[4:5], v[6:7]
	global_store_b64 v[8:9], v[12:13], off
	global_wb scope:SCOPE_SYS
	s_wait_storecnt 0x0
	s_wait_xcnt 0x0
	global_atomic_cmpswap_b64 v[6:7], v1, v[10:13], s[2:3] offset:24 th:TH_ATOMIC_RETURN scope:SCOPE_SYS
	s_wait_loadcnt 0x0
	v_cmp_ne_u64_e32 vcc_lo, v[6:7], v[12:13]
	s_and_b32 exec_lo, exec_lo, vcc_lo
	s_cbranch_execz .LBB9_26
; %bb.24:
	s_mov_b32 s4, 0
.LBB9_25:                               ; =>This Inner Loop Header: Depth=1
	v_dual_mov_b32 v4, s0 :: v_dual_mov_b32 v5, s1
	s_sleep 1
	global_store_b64 v[8:9], v[6:7], off
	global_wb scope:SCOPE_SYS
	s_wait_storecnt 0x0
	s_wait_xcnt 0x0
	global_atomic_cmpswap_b64 v[4:5], v1, v[4:7], s[2:3] offset:24 th:TH_ATOMIC_RETURN scope:SCOPE_SYS
	s_wait_loadcnt 0x0
	v_cmp_eq_u64_e32 vcc_lo, v[4:5], v[6:7]
	v_mov_b64_e32 v[6:7], v[4:5]
	s_or_b32 s4, vcc_lo, s4
	s_delay_alu instid0(SALU_CYCLE_1)
	s_and_not1_b32 exec_lo, exec_lo, s4
	s_cbranch_execnz .LBB9_25
.LBB9_26:
	s_or_b32 exec_lo, exec_lo, s6
	s_get_pc_i64 s[4:5]
	s_add_nc_u64 s[4:5], s[4:5], .str@rel64+4
	s_mov_b64 s[6:7], 0
	s_cmp_lg_u64 s[4:5], 0
	s_cselect_b32 s8, -1, 0
	s_cmp_eq_u64 s[4:5], 0
	s_cbranch_scc1 .LBB9_30
; %bb.27:
	s_get_pc_i64 s[0:1]
	s_add_nc_u64 s[0:1], s[0:1], .str@rel64+3
.LBB9_28:                               ; =>This Inner Loop Header: Depth=1
	s_load_u8 s6, s[0:1], 0x1
	s_wait_xcnt 0x0
	s_add_nc_u64 s[0:1], s[0:1], 1
	s_wait_kmcnt 0x0
	s_cmp_lg_u32 s6, 0
	s_cbranch_scc1 .LBB9_28
; %bb.29:
	s_get_pc_i64 s[6:7]
	s_add_nc_u64 s[6:7], s[6:7], .str@rel64+4
	s_delay_alu instid0(SALU_CYCLE_1) | instskip(NEXT) | instid1(SALU_CYCLE_1)
	s_sub_nc_u64 s[0:1], s[0:1], s[6:7]
	s_add_nc_u64 s[6:7], s[0:1], 1
.LBB9_30:
	s_and_b32 vcc_lo, exec_lo, s8
	s_cbranch_vccz .LBB9_109
; %bb.31:
	v_mov_b64_e32 v[6:7], 0x100000002
	s_wait_loadcnt 0x0
	v_dual_mov_b32 v9, v3 :: v_dual_bitop2_b32 v8, -3, v2 bitop3:0x40
	v_mov_b32_e32 v5, 0
	s_branch .LBB9_33
.LBB9_32:                               ;   in Loop: Header=BB9_33 Depth=1
	s_or_b32 exec_lo, exec_lo, s12
	s_sub_nc_u64 s[6:7], s[6:7], s[8:9]
	s_add_nc_u64 s[4:5], s[4:5], s[8:9]
	s_cmp_lg_u64 s[6:7], 0
	s_cbranch_scc0 .LBB9_108
.LBB9_33:                               ; =>This Loop Header: Depth=1
                                        ;     Child Loop BB9_36 Depth 2
                                        ;     Child Loop BB9_43 Depth 2
	;; [unrolled: 1-line block ×11, first 2 shown]
	s_wait_loadcnt 0x0
	v_min_u64 v[10:11], s[6:7], 56
	v_cmp_gt_u64_e64 s0, s[6:7], 7
	s_and_b32 vcc_lo, exec_lo, s0
	v_readfirstlane_b32 s8, v10
	v_readfirstlane_b32 s9, v11
	s_cbranch_vccnz .LBB9_38
; %bb.34:                               ;   in Loop: Header=BB9_33 Depth=1
	v_mov_b64_e32 v[10:11], 0
	s_cmp_eq_u64 s[6:7], 0
	s_cbranch_scc1 .LBB9_37
; %bb.35:                               ;   in Loop: Header=BB9_33 Depth=1
	s_mov_b64 s[0:1], 0
	s_mov_b64 s[10:11], 0
.LBB9_36:                               ;   Parent Loop BB9_33 Depth=1
                                        ; =>  This Inner Loop Header: Depth=2
	s_wait_xcnt 0x0
	s_add_nc_u64 s[12:13], s[4:5], s[10:11]
	s_add_nc_u64 s[10:11], s[10:11], 1
	global_load_u8 v1, v5, s[12:13]
	s_cmp_lg_u32 s8, s10
	s_wait_loadcnt 0x0
	v_and_b32_e32 v4, 0xffff, v1
	s_delay_alu instid0(VALU_DEP_1) | instskip(SKIP_1) | instid1(VALU_DEP_1)
	v_lshlrev_b64_e32 v[12:13], s0, v[4:5]
	s_add_nc_u64 s[0:1], s[0:1], 8
	v_or_b32_e32 v10, v12, v10
	s_delay_alu instid0(VALU_DEP_2)
	v_or_b32_e32 v11, v13, v11
	s_cbranch_scc1 .LBB9_36
.LBB9_37:                               ;   in Loop: Header=BB9_33 Depth=1
	s_mov_b64 s[10:11], s[4:5]
	s_mov_b32 s14, 0
	s_cbranch_execz .LBB9_39
	s_branch .LBB9_40
.LBB9_38:                               ;   in Loop: Header=BB9_33 Depth=1
	s_add_nc_u64 s[10:11], s[4:5], 8
	s_mov_b32 s14, 0
.LBB9_39:                               ;   in Loop: Header=BB9_33 Depth=1
	global_load_b64 v[10:11], v5, s[4:5]
	s_add_co_i32 s14, s8, -8
.LBB9_40:                               ;   in Loop: Header=BB9_33 Depth=1
	s_delay_alu instid0(SALU_CYCLE_1)
	s_cmp_gt_u32 s14, 7
	s_cbranch_scc1 .LBB9_45
; %bb.41:                               ;   in Loop: Header=BB9_33 Depth=1
	v_mov_b64_e32 v[12:13], 0
	s_cmp_eq_u32 s14, 0
	s_cbranch_scc1 .LBB9_44
; %bb.42:                               ;   in Loop: Header=BB9_33 Depth=1
	s_mov_b64 s[0:1], 0
	s_wait_xcnt 0x0
	s_mov_b64 s[12:13], 0
.LBB9_43:                               ;   Parent Loop BB9_33 Depth=1
                                        ; =>  This Inner Loop Header: Depth=2
	s_wait_xcnt 0x0
	s_add_nc_u64 s[16:17], s[10:11], s[12:13]
	s_add_nc_u64 s[12:13], s[12:13], 1
	global_load_u8 v1, v5, s[16:17]
	s_cmp_lg_u32 s14, s12
	s_wait_loadcnt 0x0
	v_and_b32_e32 v4, 0xffff, v1
	s_delay_alu instid0(VALU_DEP_1) | instskip(SKIP_1) | instid1(VALU_DEP_1)
	v_lshlrev_b64_e32 v[14:15], s0, v[4:5]
	s_add_nc_u64 s[0:1], s[0:1], 8
	v_or_b32_e32 v12, v14, v12
	s_delay_alu instid0(VALU_DEP_2)
	v_or_b32_e32 v13, v15, v13
	s_cbranch_scc1 .LBB9_43
.LBB9_44:                               ;   in Loop: Header=BB9_33 Depth=1
	s_wait_xcnt 0x0
	s_mov_b64 s[0:1], s[10:11]
	s_mov_b32 s15, 0
	s_cbranch_execz .LBB9_46
	s_branch .LBB9_47
.LBB9_45:                               ;   in Loop: Header=BB9_33 Depth=1
	s_add_nc_u64 s[0:1], s[10:11], 8
	s_wait_xcnt 0x0
                                        ; implicit-def: $vgpr12_vgpr13
	s_mov_b32 s15, 0
.LBB9_46:                               ;   in Loop: Header=BB9_33 Depth=1
	global_load_b64 v[12:13], v5, s[10:11]
	s_add_co_i32 s15, s14, -8
.LBB9_47:                               ;   in Loop: Header=BB9_33 Depth=1
	s_delay_alu instid0(SALU_CYCLE_1)
	s_cmp_gt_u32 s15, 7
	s_cbranch_scc1 .LBB9_52
; %bb.48:                               ;   in Loop: Header=BB9_33 Depth=1
	v_mov_b64_e32 v[14:15], 0
	s_cmp_eq_u32 s15, 0
	s_cbranch_scc1 .LBB9_51
; %bb.49:                               ;   in Loop: Header=BB9_33 Depth=1
	s_wait_xcnt 0x0
	s_mov_b64 s[10:11], 0
	s_mov_b64 s[12:13], 0
.LBB9_50:                               ;   Parent Loop BB9_33 Depth=1
                                        ; =>  This Inner Loop Header: Depth=2
	s_wait_xcnt 0x0
	s_add_nc_u64 s[16:17], s[0:1], s[12:13]
	s_add_nc_u64 s[12:13], s[12:13], 1
	global_load_u8 v1, v5, s[16:17]
	s_cmp_lg_u32 s15, s12
	s_wait_loadcnt 0x0
	v_and_b32_e32 v4, 0xffff, v1
	s_delay_alu instid0(VALU_DEP_1) | instskip(SKIP_1) | instid1(VALU_DEP_1)
	v_lshlrev_b64_e32 v[16:17], s10, v[4:5]
	s_add_nc_u64 s[10:11], s[10:11], 8
	v_or_b32_e32 v14, v16, v14
	s_delay_alu instid0(VALU_DEP_2)
	v_or_b32_e32 v15, v17, v15
	s_cbranch_scc1 .LBB9_50
.LBB9_51:                               ;   in Loop: Header=BB9_33 Depth=1
	s_wait_xcnt 0x0
	s_mov_b64 s[10:11], s[0:1]
	s_mov_b32 s14, 0
	s_cbranch_execz .LBB9_53
	s_branch .LBB9_54
.LBB9_52:                               ;   in Loop: Header=BB9_33 Depth=1
	s_wait_xcnt 0x0
	s_add_nc_u64 s[10:11], s[0:1], 8
	s_mov_b32 s14, 0
.LBB9_53:                               ;   in Loop: Header=BB9_33 Depth=1
	global_load_b64 v[14:15], v5, s[0:1]
	s_add_co_i32 s14, s15, -8
.LBB9_54:                               ;   in Loop: Header=BB9_33 Depth=1
	s_delay_alu instid0(SALU_CYCLE_1)
	s_cmp_gt_u32 s14, 7
	s_cbranch_scc1 .LBB9_59
; %bb.55:                               ;   in Loop: Header=BB9_33 Depth=1
	v_mov_b64_e32 v[16:17], 0
	s_cmp_eq_u32 s14, 0
	s_cbranch_scc1 .LBB9_58
; %bb.56:                               ;   in Loop: Header=BB9_33 Depth=1
	s_wait_xcnt 0x0
	s_mov_b64 s[0:1], 0
	s_mov_b64 s[12:13], 0
.LBB9_57:                               ;   Parent Loop BB9_33 Depth=1
                                        ; =>  This Inner Loop Header: Depth=2
	s_wait_xcnt 0x0
	s_add_nc_u64 s[16:17], s[10:11], s[12:13]
	s_add_nc_u64 s[12:13], s[12:13], 1
	global_load_u8 v1, v5, s[16:17]
	s_cmp_lg_u32 s14, s12
	s_wait_loadcnt 0x0
	v_and_b32_e32 v4, 0xffff, v1
	s_delay_alu instid0(VALU_DEP_1) | instskip(SKIP_1) | instid1(VALU_DEP_1)
	v_lshlrev_b64_e32 v[18:19], s0, v[4:5]
	s_add_nc_u64 s[0:1], s[0:1], 8
	v_or_b32_e32 v16, v18, v16
	s_delay_alu instid0(VALU_DEP_2)
	v_or_b32_e32 v17, v19, v17
	s_cbranch_scc1 .LBB9_57
.LBB9_58:                               ;   in Loop: Header=BB9_33 Depth=1
	s_wait_xcnt 0x0
	s_mov_b64 s[0:1], s[10:11]
	s_mov_b32 s15, 0
	s_cbranch_execz .LBB9_60
	s_branch .LBB9_61
.LBB9_59:                               ;   in Loop: Header=BB9_33 Depth=1
	s_wait_xcnt 0x0
	s_add_nc_u64 s[0:1], s[10:11], 8
                                        ; implicit-def: $vgpr16_vgpr17
	s_mov_b32 s15, 0
.LBB9_60:                               ;   in Loop: Header=BB9_33 Depth=1
	global_load_b64 v[16:17], v5, s[10:11]
	s_add_co_i32 s15, s14, -8
.LBB9_61:                               ;   in Loop: Header=BB9_33 Depth=1
	s_delay_alu instid0(SALU_CYCLE_1)
	s_cmp_gt_u32 s15, 7
	s_cbranch_scc1 .LBB9_66
; %bb.62:                               ;   in Loop: Header=BB9_33 Depth=1
	v_mov_b64_e32 v[18:19], 0
	s_cmp_eq_u32 s15, 0
	s_cbranch_scc1 .LBB9_65
; %bb.63:                               ;   in Loop: Header=BB9_33 Depth=1
	s_wait_xcnt 0x0
	s_mov_b64 s[10:11], 0
	s_mov_b64 s[12:13], 0
.LBB9_64:                               ;   Parent Loop BB9_33 Depth=1
                                        ; =>  This Inner Loop Header: Depth=2
	s_wait_xcnt 0x0
	s_add_nc_u64 s[16:17], s[0:1], s[12:13]
	s_add_nc_u64 s[12:13], s[12:13], 1
	global_load_u8 v1, v5, s[16:17]
	s_cmp_lg_u32 s15, s12
	s_wait_loadcnt 0x0
	v_and_b32_e32 v4, 0xffff, v1
	s_delay_alu instid0(VALU_DEP_1) | instskip(SKIP_1) | instid1(VALU_DEP_1)
	v_lshlrev_b64_e32 v[20:21], s10, v[4:5]
	s_add_nc_u64 s[10:11], s[10:11], 8
	v_or_b32_e32 v18, v20, v18
	s_delay_alu instid0(VALU_DEP_2)
	v_or_b32_e32 v19, v21, v19
	s_cbranch_scc1 .LBB9_64
.LBB9_65:                               ;   in Loop: Header=BB9_33 Depth=1
	s_wait_xcnt 0x0
	s_mov_b64 s[10:11], s[0:1]
	s_mov_b32 s14, 0
	s_cbranch_execz .LBB9_67
	s_branch .LBB9_68
.LBB9_66:                               ;   in Loop: Header=BB9_33 Depth=1
	s_wait_xcnt 0x0
	s_add_nc_u64 s[10:11], s[0:1], 8
	s_mov_b32 s14, 0
.LBB9_67:                               ;   in Loop: Header=BB9_33 Depth=1
	global_load_b64 v[18:19], v5, s[0:1]
	s_add_co_i32 s14, s15, -8
.LBB9_68:                               ;   in Loop: Header=BB9_33 Depth=1
	s_delay_alu instid0(SALU_CYCLE_1)
	s_cmp_gt_u32 s14, 7
	s_cbranch_scc1 .LBB9_73
; %bb.69:                               ;   in Loop: Header=BB9_33 Depth=1
	v_mov_b64_e32 v[20:21], 0
	s_cmp_eq_u32 s14, 0
	s_cbranch_scc1 .LBB9_72
; %bb.70:                               ;   in Loop: Header=BB9_33 Depth=1
	s_wait_xcnt 0x0
	s_mov_b64 s[0:1], 0
	s_mov_b64 s[12:13], 0
.LBB9_71:                               ;   Parent Loop BB9_33 Depth=1
                                        ; =>  This Inner Loop Header: Depth=2
	s_wait_xcnt 0x0
	s_add_nc_u64 s[16:17], s[10:11], s[12:13]
	s_add_nc_u64 s[12:13], s[12:13], 1
	global_load_u8 v1, v5, s[16:17]
	s_cmp_lg_u32 s14, s12
	s_wait_loadcnt 0x0
	v_and_b32_e32 v4, 0xffff, v1
	s_delay_alu instid0(VALU_DEP_1) | instskip(SKIP_1) | instid1(VALU_DEP_1)
	v_lshlrev_b64_e32 v[22:23], s0, v[4:5]
	s_add_nc_u64 s[0:1], s[0:1], 8
	v_or_b32_e32 v20, v22, v20
	s_delay_alu instid0(VALU_DEP_2)
	v_or_b32_e32 v21, v23, v21
	s_cbranch_scc1 .LBB9_71
.LBB9_72:                               ;   in Loop: Header=BB9_33 Depth=1
	s_wait_xcnt 0x0
	s_mov_b64 s[0:1], s[10:11]
	s_mov_b32 s15, 0
	s_cbranch_execz .LBB9_74
	s_branch .LBB9_75
.LBB9_73:                               ;   in Loop: Header=BB9_33 Depth=1
	s_wait_xcnt 0x0
	s_add_nc_u64 s[0:1], s[10:11], 8
                                        ; implicit-def: $vgpr20_vgpr21
	s_mov_b32 s15, 0
.LBB9_74:                               ;   in Loop: Header=BB9_33 Depth=1
	global_load_b64 v[20:21], v5, s[10:11]
	s_add_co_i32 s15, s14, -8
.LBB9_75:                               ;   in Loop: Header=BB9_33 Depth=1
	s_delay_alu instid0(SALU_CYCLE_1)
	s_cmp_gt_u32 s15, 7
	s_cbranch_scc1 .LBB9_80
; %bb.76:                               ;   in Loop: Header=BB9_33 Depth=1
	v_mov_b64_e32 v[22:23], 0
	s_cmp_eq_u32 s15, 0
	s_cbranch_scc1 .LBB9_79
; %bb.77:                               ;   in Loop: Header=BB9_33 Depth=1
	s_wait_xcnt 0x0
	s_mov_b64 s[10:11], 0
	s_mov_b64 s[12:13], s[0:1]
.LBB9_78:                               ;   Parent Loop BB9_33 Depth=1
                                        ; =>  This Inner Loop Header: Depth=2
	global_load_u8 v1, v5, s[12:13]
	s_add_co_i32 s15, s15, -1
	s_wait_xcnt 0x0
	s_add_nc_u64 s[12:13], s[12:13], 1
	s_cmp_lg_u32 s15, 0
	s_wait_loadcnt 0x0
	v_and_b32_e32 v4, 0xffff, v1
	s_delay_alu instid0(VALU_DEP_1) | instskip(SKIP_1) | instid1(VALU_DEP_1)
	v_lshlrev_b64_e32 v[24:25], s10, v[4:5]
	s_add_nc_u64 s[10:11], s[10:11], 8
	v_or_b32_e32 v22, v24, v22
	s_delay_alu instid0(VALU_DEP_2)
	v_or_b32_e32 v23, v25, v23
	s_cbranch_scc1 .LBB9_78
.LBB9_79:                               ;   in Loop: Header=BB9_33 Depth=1
	s_wait_xcnt 0x0
	s_cbranch_execz .LBB9_81
	s_branch .LBB9_82
.LBB9_80:                               ;   in Loop: Header=BB9_33 Depth=1
	s_wait_xcnt 0x0
.LBB9_81:                               ;   in Loop: Header=BB9_33 Depth=1
	global_load_b64 v[22:23], v5, s[0:1]
.LBB9_82:                               ;   in Loop: Header=BB9_33 Depth=1
	s_wait_xcnt 0x0
	v_readfirstlane_b32 s0, v32
	v_mov_b64_e32 v[28:29], 0
	s_delay_alu instid0(VALU_DEP_2)
	v_cmp_eq_u32_e64 s0, s0, v32
	s_and_saveexec_b32 s1, s0
	s_cbranch_execz .LBB9_88
; %bb.83:                               ;   in Loop: Header=BB9_33 Depth=1
	global_load_b64 v[26:27], v5, s[2:3] offset:24 scope:SCOPE_SYS
	s_wait_loadcnt 0x0
	global_inv scope:SCOPE_SYS
	s_clause 0x1
	global_load_b64 v[24:25], v5, s[2:3] offset:40
	global_load_b64 v[28:29], v5, s[2:3]
	s_mov_b32 s10, exec_lo
	s_wait_loadcnt 0x1
	v_and_b32_e32 v24, v24, v26
	v_and_b32_e32 v25, v25, v27
	s_delay_alu instid0(VALU_DEP_1) | instskip(SKIP_1) | instid1(VALU_DEP_1)
	v_mul_u64_e32 v[24:25], 24, v[24:25]
	s_wait_loadcnt 0x0
	v_add_nc_u64_e32 v[24:25], v[28:29], v[24:25]
	global_load_b64 v[24:25], v[24:25], off scope:SCOPE_SYS
	s_wait_xcnt 0x0
	s_wait_loadcnt 0x0
	global_atomic_cmpswap_b64 v[28:29], v5, v[24:27], s[2:3] offset:24 th:TH_ATOMIC_RETURN scope:SCOPE_SYS
	s_wait_loadcnt 0x0
	global_inv scope:SCOPE_SYS
	s_wait_xcnt 0x0
	v_cmpx_ne_u64_e64 v[28:29], v[26:27]
	s_cbranch_execz .LBB9_87
; %bb.84:                               ;   in Loop: Header=BB9_33 Depth=1
	s_mov_b32 s11, 0
.LBB9_85:                               ;   Parent Loop BB9_33 Depth=1
                                        ; =>  This Inner Loop Header: Depth=2
	s_sleep 1
	s_clause 0x1
	global_load_b64 v[24:25], v5, s[2:3] offset:40
	global_load_b64 v[30:31], v5, s[2:3]
	v_mov_b64_e32 v[26:27], v[28:29]
	s_wait_loadcnt 0x1
	s_delay_alu instid0(VALU_DEP_1) | instskip(SKIP_1) | instid1(VALU_DEP_1)
	v_and_b32_e32 v1, v24, v26
	s_wait_loadcnt 0x0
	v_mad_nc_u64_u32 v[28:29], v1, 24, v[30:31]
	s_delay_alu instid0(VALU_DEP_3) | instskip(NEXT) | instid1(VALU_DEP_1)
	v_and_b32_e32 v1, v25, v27
	v_mad_u32 v29, v1, 24, v29
	global_load_b64 v[24:25], v[28:29], off scope:SCOPE_SYS
	s_wait_xcnt 0x0
	s_wait_loadcnt 0x0
	global_atomic_cmpswap_b64 v[28:29], v5, v[24:27], s[2:3] offset:24 th:TH_ATOMIC_RETURN scope:SCOPE_SYS
	s_wait_loadcnt 0x0
	global_inv scope:SCOPE_SYS
	v_cmp_eq_u64_e32 vcc_lo, v[28:29], v[26:27]
	s_or_b32 s11, vcc_lo, s11
	s_wait_xcnt 0x0
	s_and_not1_b32 exec_lo, exec_lo, s11
	s_cbranch_execnz .LBB9_85
; %bb.86:                               ;   in Loop: Header=BB9_33 Depth=1
	s_or_b32 exec_lo, exec_lo, s11
.LBB9_87:                               ;   in Loop: Header=BB9_33 Depth=1
	s_delay_alu instid0(SALU_CYCLE_1)
	s_or_b32 exec_lo, exec_lo, s10
.LBB9_88:                               ;   in Loop: Header=BB9_33 Depth=1
	s_delay_alu instid0(SALU_CYCLE_1)
	s_or_b32 exec_lo, exec_lo, s1
	s_clause 0x1
	global_load_b64 v[30:31], v5, s[2:3] offset:40
	global_load_b128 v[24:27], v5, s[2:3]
	v_readfirstlane_b32 s10, v28
	v_readfirstlane_b32 s11, v29
	s_mov_b32 s1, exec_lo
	s_wait_loadcnt 0x1
	v_and_b32_e32 v30, s10, v30
	v_and_b32_e32 v31, s11, v31
	s_delay_alu instid0(VALU_DEP_1) | instskip(SKIP_1) | instid1(VALU_DEP_1)
	v_mul_u64_e32 v[28:29], 24, v[30:31]
	s_wait_loadcnt 0x0
	v_add_nc_u64_e32 v[28:29], v[24:25], v[28:29]
	s_wait_xcnt 0x0
	s_and_saveexec_b32 s12, s0
	s_cbranch_execz .LBB9_90
; %bb.89:                               ;   in Loop: Header=BB9_33 Depth=1
	v_mov_b32_e32 v4, s1
	global_store_b128 v[28:29], v[4:7], off offset:8
.LBB9_90:                               ;   in Loop: Header=BB9_33 Depth=1
	s_wait_xcnt 0x0
	s_or_b32 exec_lo, exec_lo, s12
	v_cmp_gt_u64_e64 s1, s[6:7], 56
	v_lshlrev_b64_e32 v[30:31], 12, v[30:31]
	v_and_b32_e32 v1, 0xffffff1f, v8
	s_and_b32 s1, s1, exec_lo
	s_delay_alu instid0(VALU_DEP_2) | instskip(SKIP_4) | instid1(VALU_DEP_2)
	v_add_nc_u64_e32 v[26:27], v[26:27], v[30:31]
	s_cselect_b32 s1, 0, 2
	s_lshl_b32 s12, s8, 2
	v_or_b32_e32 v1, s1, v1
	s_add_co_i32 s1, s12, 28
	v_readfirstlane_b32 s12, v26
	s_delay_alu instid0(VALU_DEP_3) | instskip(NEXT) | instid1(VALU_DEP_3)
	v_readfirstlane_b32 s13, v27
	v_and_or_b32 v8, 0x1e0, s1, v1
	s_clause 0x3
	global_store_b128 v0, v[8:11], s[12:13]
	global_store_b128 v0, v[12:15], s[12:13] offset:16
	global_store_b128 v0, v[16:19], s[12:13] offset:32
	;; [unrolled: 1-line block ×3, first 2 shown]
	s_wait_xcnt 0x0
	s_and_saveexec_b32 s1, s0
	s_cbranch_execz .LBB9_98
; %bb.91:                               ;   in Loop: Header=BB9_33 Depth=1
	s_clause 0x1
	global_load_b64 v[16:17], v5, s[2:3] offset:32 scope:SCOPE_SYS
	global_load_b64 v[8:9], v5, s[2:3] offset:40
	s_mov_b32 s12, exec_lo
	v_dual_mov_b32 v14, s10 :: v_dual_mov_b32 v15, s11
	s_wait_loadcnt 0x0
	v_and_b32_e32 v9, s11, v9
	v_and_b32_e32 v8, s10, v8
	s_delay_alu instid0(VALU_DEP_1) | instskip(NEXT) | instid1(VALU_DEP_1)
	v_mul_u64_e32 v[8:9], 24, v[8:9]
	v_add_nc_u64_e32 v[12:13], v[24:25], v[8:9]
	global_store_b64 v[12:13], v[16:17], off
	global_wb scope:SCOPE_SYS
	s_wait_storecnt 0x0
	s_wait_xcnt 0x0
	global_atomic_cmpswap_b64 v[10:11], v5, v[14:17], s[2:3] offset:32 th:TH_ATOMIC_RETURN scope:SCOPE_SYS
	s_wait_loadcnt 0x0
	v_cmpx_ne_u64_e64 v[10:11], v[16:17]
	s_cbranch_execz .LBB9_94
; %bb.92:                               ;   in Loop: Header=BB9_33 Depth=1
	s_mov_b32 s13, 0
.LBB9_93:                               ;   Parent Loop BB9_33 Depth=1
                                        ; =>  This Inner Loop Header: Depth=2
	v_dual_mov_b32 v8, s10 :: v_dual_mov_b32 v9, s11
	s_sleep 1
	global_store_b64 v[12:13], v[10:11], off
	global_wb scope:SCOPE_SYS
	s_wait_storecnt 0x0
	s_wait_xcnt 0x0
	global_atomic_cmpswap_b64 v[8:9], v5, v[8:11], s[2:3] offset:32 th:TH_ATOMIC_RETURN scope:SCOPE_SYS
	s_wait_loadcnt 0x0
	v_cmp_eq_u64_e32 vcc_lo, v[8:9], v[10:11]
	v_mov_b64_e32 v[10:11], v[8:9]
	s_or_b32 s13, vcc_lo, s13
	s_delay_alu instid0(SALU_CYCLE_1)
	s_and_not1_b32 exec_lo, exec_lo, s13
	s_cbranch_execnz .LBB9_93
.LBB9_94:                               ;   in Loop: Header=BB9_33 Depth=1
	s_or_b32 exec_lo, exec_lo, s12
	global_load_b64 v[8:9], v5, s[2:3] offset:16
	s_mov_b32 s13, exec_lo
	s_mov_b32 s12, exec_lo
	v_mbcnt_lo_u32_b32 v1, s13, 0
	s_wait_xcnt 0x0
	s_delay_alu instid0(VALU_DEP_1)
	v_cmpx_eq_u32_e32 0, v1
	s_cbranch_execz .LBB9_96
; %bb.95:                               ;   in Loop: Header=BB9_33 Depth=1
	s_bcnt1_i32_b32 s13, s13
	s_delay_alu instid0(SALU_CYCLE_1)
	v_mov_b32_e32 v4, s13
	global_wb scope:SCOPE_SYS
	s_wait_loadcnt 0x0
	s_wait_storecnt 0x0
	global_atomic_add_u64 v[8:9], v[4:5], off offset:8 scope:SCOPE_SYS
.LBB9_96:                               ;   in Loop: Header=BB9_33 Depth=1
	s_wait_xcnt 0x0
	s_or_b32 exec_lo, exec_lo, s12
	s_wait_loadcnt 0x0
	global_load_b64 v[10:11], v[8:9], off offset:16
	s_wait_loadcnt 0x0
	v_cmp_eq_u64_e32 vcc_lo, 0, v[10:11]
	s_cbranch_vccnz .LBB9_98
; %bb.97:                               ;   in Loop: Header=BB9_33 Depth=1
	global_load_b32 v4, v[8:9], off offset:24
	s_wait_loadcnt 0x0
	v_readfirstlane_b32 s12, v4
	global_wb scope:SCOPE_SYS
	s_wait_storecnt 0x0
	s_wait_xcnt 0x0
	global_store_b64 v[10:11], v[4:5], off scope:SCOPE_SYS
	s_and_b32 m0, s12, 0xffffff
	s_sendmsg sendmsg(MSG_INTERRUPT)
.LBB9_98:                               ;   in Loop: Header=BB9_33 Depth=1
	s_wait_xcnt 0x0
	s_or_b32 exec_lo, exec_lo, s1
	v_mov_b32_e32 v1, v5
	s_delay_alu instid0(VALU_DEP_1)
	v_add_nc_u64_e32 v[8:9], v[26:27], v[0:1]
	s_branch .LBB9_102
.LBB9_99:                               ;   in Loop: Header=BB9_102 Depth=2
	s_wait_xcnt 0x0
	s_or_b32 exec_lo, exec_lo, s1
	s_delay_alu instid0(VALU_DEP_1)
	v_readfirstlane_b32 s1, v1
	s_cmp_eq_u32 s1, 0
	s_cbranch_scc1 .LBB9_101
; %bb.100:                              ;   in Loop: Header=BB9_102 Depth=2
	s_sleep 1
	s_cbranch_execnz .LBB9_102
	s_branch .LBB9_104
.LBB9_101:                              ;   in Loop: Header=BB9_33 Depth=1
	s_branch .LBB9_104
.LBB9_102:                              ;   Parent Loop BB9_33 Depth=1
                                        ; =>  This Inner Loop Header: Depth=2
	v_mov_b32_e32 v1, 1
	s_and_saveexec_b32 s1, s0
	s_cbranch_execz .LBB9_99
; %bb.103:                              ;   in Loop: Header=BB9_102 Depth=2
	global_load_b32 v1, v[28:29], off offset:20 scope:SCOPE_SYS
	s_wait_loadcnt 0x0
	global_inv scope:SCOPE_SYS
	v_and_b32_e32 v1, 1, v1
	s_branch .LBB9_99
.LBB9_104:                              ;   in Loop: Header=BB9_33 Depth=1
	global_load_b128 v[8:11], v[8:9], off
	s_wait_xcnt 0x0
	s_and_saveexec_b32 s12, s0
	s_cbranch_execz .LBB9_32
; %bb.105:                              ;   in Loop: Header=BB9_33 Depth=1
	s_wait_loadcnt 0x0
	s_clause 0x2
	global_load_b64 v[10:11], v5, s[2:3] offset:40
	global_load_b64 v[18:19], v5, s[2:3] offset:24 scope:SCOPE_SYS
	global_load_b64 v[12:13], v5, s[2:3]
	s_wait_loadcnt 0x2
	v_readfirstlane_b32 s14, v10
	v_readfirstlane_b32 s15, v11
	s_add_nc_u64 s[0:1], s[14:15], 1
	s_delay_alu instid0(SALU_CYCLE_1) | instskip(NEXT) | instid1(SALU_CYCLE_1)
	s_add_nc_u64 s[10:11], s[0:1], s[10:11]
	s_cmp_eq_u64 s[10:11], 0
	s_cselect_b32 s1, s1, s11
	s_cselect_b32 s0, s0, s10
	s_delay_alu instid0(SALU_CYCLE_1) | instskip(SKIP_1) | instid1(SALU_CYCLE_1)
	v_dual_mov_b32 v17, s1 :: v_dual_mov_b32 v16, s0
	s_and_b64 s[10:11], s[0:1], s[14:15]
	s_mul_u64 s[10:11], s[10:11], 24
	s_wait_loadcnt 0x0
	v_add_nc_u64_e32 v[14:15], s[10:11], v[12:13]
	global_store_b64 v[14:15], v[18:19], off
	global_wb scope:SCOPE_SYS
	s_wait_storecnt 0x0
	s_wait_xcnt 0x0
	global_atomic_cmpswap_b64 v[12:13], v5, v[16:19], s[2:3] offset:24 th:TH_ATOMIC_RETURN scope:SCOPE_SYS
	s_wait_loadcnt 0x0
	v_cmp_ne_u64_e32 vcc_lo, v[12:13], v[18:19]
	s_and_b32 exec_lo, exec_lo, vcc_lo
	s_cbranch_execz .LBB9_32
; %bb.106:                              ;   in Loop: Header=BB9_33 Depth=1
	s_mov_b32 s10, 0
.LBB9_107:                              ;   Parent Loop BB9_33 Depth=1
                                        ; =>  This Inner Loop Header: Depth=2
	v_dual_mov_b32 v10, s0 :: v_dual_mov_b32 v11, s1
	s_sleep 1
	global_store_b64 v[14:15], v[12:13], off
	global_wb scope:SCOPE_SYS
	s_wait_storecnt 0x0
	s_wait_xcnt 0x0
	global_atomic_cmpswap_b64 v[10:11], v5, v[10:13], s[2:3] offset:24 th:TH_ATOMIC_RETURN scope:SCOPE_SYS
	s_wait_loadcnt 0x0
	v_cmp_eq_u64_e32 vcc_lo, v[10:11], v[12:13]
	v_mov_b64_e32 v[12:13], v[10:11]
	s_or_b32 s10, vcc_lo, s10
	s_delay_alu instid0(SALU_CYCLE_1)
	s_and_not1_b32 exec_lo, exec_lo, s10
	s_cbranch_execnz .LBB9_107
	s_branch .LBB9_32
.LBB9_108:
	s_branch .LBB9_136
.LBB9_109:
	s_cbranch_execz .LBB9_136
; %bb.110:
	v_readfirstlane_b32 s0, v32
	s_wait_loadcnt 0x0
	v_mov_b64_e32 v[10:11], 0
	s_delay_alu instid0(VALU_DEP_2)
	v_cmp_eq_u32_e64 s0, s0, v32
	s_and_saveexec_b32 s1, s0
	s_cbranch_execz .LBB9_116
; %bb.111:
	v_mov_b32_e32 v1, 0
	s_mov_b32 s4, exec_lo
	global_load_b64 v[6:7], v1, s[2:3] offset:24 scope:SCOPE_SYS
	s_wait_loadcnt 0x0
	global_inv scope:SCOPE_SYS
	s_clause 0x1
	global_load_b64 v[4:5], v1, s[2:3] offset:40
	global_load_b64 v[8:9], v1, s[2:3]
	s_wait_loadcnt 0x1
	v_and_b32_e32 v4, v4, v6
	v_and_b32_e32 v5, v5, v7
	s_delay_alu instid0(VALU_DEP_1) | instskip(SKIP_1) | instid1(VALU_DEP_1)
	v_mul_u64_e32 v[4:5], 24, v[4:5]
	s_wait_loadcnt 0x0
	v_add_nc_u64_e32 v[4:5], v[8:9], v[4:5]
	global_load_b64 v[4:5], v[4:5], off scope:SCOPE_SYS
	s_wait_xcnt 0x0
	s_wait_loadcnt 0x0
	global_atomic_cmpswap_b64 v[10:11], v1, v[4:7], s[2:3] offset:24 th:TH_ATOMIC_RETURN scope:SCOPE_SYS
	s_wait_loadcnt 0x0
	global_inv scope:SCOPE_SYS
	s_wait_xcnt 0x0
	v_cmpx_ne_u64_e64 v[10:11], v[6:7]
	s_cbranch_execz .LBB9_115
; %bb.112:
	s_mov_b32 s5, 0
.LBB9_113:                              ; =>This Inner Loop Header: Depth=1
	s_sleep 1
	s_clause 0x1
	global_load_b64 v[4:5], v1, s[2:3] offset:40
	global_load_b64 v[8:9], v1, s[2:3]
	v_mov_b64_e32 v[6:7], v[10:11]
	s_wait_loadcnt 0x1
	s_delay_alu instid0(VALU_DEP_1) | instskip(SKIP_1) | instid1(VALU_DEP_1)
	v_and_b32_e32 v4, v4, v6
	s_wait_loadcnt 0x0
	v_mad_nc_u64_u32 v[8:9], v4, 24, v[8:9]
	s_delay_alu instid0(VALU_DEP_3) | instskip(NEXT) | instid1(VALU_DEP_1)
	v_and_b32_e32 v4, v5, v7
	v_mad_u32 v9, v4, 24, v9
	global_load_b64 v[4:5], v[8:9], off scope:SCOPE_SYS
	s_wait_xcnt 0x0
	s_wait_loadcnt 0x0
	global_atomic_cmpswap_b64 v[10:11], v1, v[4:7], s[2:3] offset:24 th:TH_ATOMIC_RETURN scope:SCOPE_SYS
	s_wait_loadcnt 0x0
	global_inv scope:SCOPE_SYS
	v_cmp_eq_u64_e32 vcc_lo, v[10:11], v[6:7]
	s_or_b32 s5, vcc_lo, s5
	s_wait_xcnt 0x0
	s_and_not1_b32 exec_lo, exec_lo, s5
	s_cbranch_execnz .LBB9_113
; %bb.114:
	s_or_b32 exec_lo, exec_lo, s5
.LBB9_115:
	s_delay_alu instid0(SALU_CYCLE_1)
	s_or_b32 exec_lo, exec_lo, s4
.LBB9_116:
	s_delay_alu instid0(SALU_CYCLE_1)
	s_or_b32 exec_lo, exec_lo, s1
	v_readfirstlane_b32 s4, v10
	v_mov_b32_e32 v4, 0
	v_readfirstlane_b32 s5, v11
	s_mov_b32 s1, exec_lo
	s_clause 0x1
	global_load_b64 v[12:13], v4, s[2:3] offset:40
	global_load_b128 v[6:9], v4, s[2:3]
	s_wait_loadcnt 0x1
	v_and_b32_e32 v12, s4, v12
	v_and_b32_e32 v13, s5, v13
	s_delay_alu instid0(VALU_DEP_1) | instskip(SKIP_1) | instid1(VALU_DEP_1)
	v_mul_u64_e32 v[10:11], 24, v[12:13]
	s_wait_loadcnt 0x0
	v_add_nc_u64_e32 v[10:11], v[6:7], v[10:11]
	s_wait_xcnt 0x0
	s_and_saveexec_b32 s6, s0
	s_cbranch_execz .LBB9_118
; %bb.117:
	v_mov_b64_e32 v[16:17], 0x100000002
	v_dual_mov_b32 v14, s1 :: v_dual_mov_b32 v15, v4
	global_store_b128 v[10:11], v[14:17], off offset:8
.LBB9_118:
	s_wait_xcnt 0x0
	s_or_b32 exec_lo, exec_lo, s6
	v_lshlrev_b64_e32 v[12:13], 12, v[12:13]
	s_mov_b32 s8, 0
	v_and_or_b32 v2, 0xffffff1d, v2, 34
	s_mov_b32 s10, s8
	s_mov_b32 s11, s8
	;; [unrolled: 1-line block ×3, first 2 shown]
	v_mov_b32_e32 v5, v4
	v_add_nc_u64_e32 v[8:9], v[8:9], v[12:13]
	v_mov_b64_e32 v[14:15], s[10:11]
	v_mov_b64_e32 v[12:13], s[8:9]
	s_delay_alu instid0(VALU_DEP_3) | instskip(NEXT) | instid1(VALU_DEP_4)
	v_readfirstlane_b32 s6, v8
	v_readfirstlane_b32 s7, v9
	s_clause 0x3
	global_store_b128 v0, v[2:5], s[6:7]
	global_store_b128 v0, v[12:15], s[6:7] offset:16
	global_store_b128 v0, v[12:15], s[6:7] offset:32
	;; [unrolled: 1-line block ×3, first 2 shown]
	s_wait_xcnt 0x0
	s_and_saveexec_b32 s1, s0
	s_cbranch_execz .LBB9_126
; %bb.119:
	v_dual_mov_b32 v8, 0 :: v_dual_mov_b32 v13, s5
	s_mov_b32 s6, exec_lo
	s_clause 0x1
	global_load_b64 v[14:15], v8, s[2:3] offset:32 scope:SCOPE_SYS
	global_load_b64 v[0:1], v8, s[2:3] offset:40
	s_wait_loadcnt 0x0
	v_dual_mov_b32 v12, s4 :: v_dual_bitop2_b32 v1, s5, v1 bitop3:0x40
	v_and_b32_e32 v0, s4, v0
	s_delay_alu instid0(VALU_DEP_1) | instskip(NEXT) | instid1(VALU_DEP_1)
	v_mul_u64_e32 v[0:1], 24, v[0:1]
	v_add_nc_u64_e32 v[4:5], v[6:7], v[0:1]
	global_store_b64 v[4:5], v[14:15], off
	global_wb scope:SCOPE_SYS
	s_wait_storecnt 0x0
	s_wait_xcnt 0x0
	global_atomic_cmpswap_b64 v[2:3], v8, v[12:15], s[2:3] offset:32 th:TH_ATOMIC_RETURN scope:SCOPE_SYS
	s_wait_loadcnt 0x0
	v_cmpx_ne_u64_e64 v[2:3], v[14:15]
	s_cbranch_execz .LBB9_122
; %bb.120:
	s_mov_b32 s7, 0
.LBB9_121:                              ; =>This Inner Loop Header: Depth=1
	v_dual_mov_b32 v0, s4 :: v_dual_mov_b32 v1, s5
	s_sleep 1
	global_store_b64 v[4:5], v[2:3], off
	global_wb scope:SCOPE_SYS
	s_wait_storecnt 0x0
	s_wait_xcnt 0x0
	global_atomic_cmpswap_b64 v[0:1], v8, v[0:3], s[2:3] offset:32 th:TH_ATOMIC_RETURN scope:SCOPE_SYS
	s_wait_loadcnt 0x0
	v_cmp_eq_u64_e32 vcc_lo, v[0:1], v[2:3]
	v_mov_b64_e32 v[2:3], v[0:1]
	s_or_b32 s7, vcc_lo, s7
	s_delay_alu instid0(SALU_CYCLE_1)
	s_and_not1_b32 exec_lo, exec_lo, s7
	s_cbranch_execnz .LBB9_121
.LBB9_122:
	s_or_b32 exec_lo, exec_lo, s6
	v_mov_b32_e32 v3, 0
	s_mov_b32 s7, exec_lo
	s_mov_b32 s6, exec_lo
	v_mbcnt_lo_u32_b32 v2, s7, 0
	global_load_b64 v[0:1], v3, s[2:3] offset:16
	s_wait_xcnt 0x0
	v_cmpx_eq_u32_e32 0, v2
	s_cbranch_execz .LBB9_124
; %bb.123:
	s_bcnt1_i32_b32 s7, s7
	s_delay_alu instid0(SALU_CYCLE_1)
	v_mov_b32_e32 v2, s7
	global_wb scope:SCOPE_SYS
	s_wait_loadcnt 0x0
	s_wait_storecnt 0x0
	global_atomic_add_u64 v[0:1], v[2:3], off offset:8 scope:SCOPE_SYS
.LBB9_124:
	s_wait_xcnt 0x0
	s_or_b32 exec_lo, exec_lo, s6
	s_wait_loadcnt 0x0
	global_load_b64 v[2:3], v[0:1], off offset:16
	s_wait_loadcnt 0x0
	v_cmp_eq_u64_e32 vcc_lo, 0, v[2:3]
	s_cbranch_vccnz .LBB9_126
; %bb.125:
	global_load_b32 v0, v[0:1], off offset:24
	s_wait_xcnt 0x0
	v_mov_b32_e32 v1, 0
	s_wait_loadcnt 0x0
	v_readfirstlane_b32 s6, v0
	global_wb scope:SCOPE_SYS
	s_wait_storecnt 0x0
	global_store_b64 v[2:3], v[0:1], off scope:SCOPE_SYS
	s_and_b32 m0, s6, 0xffffff
	s_sendmsg sendmsg(MSG_INTERRUPT)
.LBB9_126:
	s_wait_xcnt 0x0
	s_or_b32 exec_lo, exec_lo, s1
	s_branch .LBB9_130
.LBB9_127:                              ;   in Loop: Header=BB9_130 Depth=1
	s_wait_xcnt 0x0
	s_or_b32 exec_lo, exec_lo, s1
	s_delay_alu instid0(VALU_DEP_1)
	v_readfirstlane_b32 s1, v0
	s_cmp_eq_u32 s1, 0
	s_cbranch_scc1 .LBB9_129
; %bb.128:                              ;   in Loop: Header=BB9_130 Depth=1
	s_sleep 1
	s_cbranch_execnz .LBB9_130
	s_branch .LBB9_132
.LBB9_129:
	s_branch .LBB9_132
.LBB9_130:                              ; =>This Inner Loop Header: Depth=1
	v_mov_b32_e32 v0, 1
	s_and_saveexec_b32 s1, s0
	s_cbranch_execz .LBB9_127
; %bb.131:                              ;   in Loop: Header=BB9_130 Depth=1
	global_load_b32 v0, v[10:11], off offset:20 scope:SCOPE_SYS
	s_wait_loadcnt 0x0
	global_inv scope:SCOPE_SYS
	v_and_b32_e32 v0, 1, v0
	s_branch .LBB9_127
.LBB9_132:
	s_and_saveexec_b32 s1, s0
	s_cbranch_execz .LBB9_136
; %bb.133:
	v_mov_b32_e32 v6, 0
	s_clause 0x2
	global_load_b64 v[0:1], v6, s[2:3] offset:40
	global_load_b64 v[10:11], v6, s[2:3] offset:24 scope:SCOPE_SYS
	global_load_b64 v[2:3], v6, s[2:3]
	s_wait_loadcnt 0x2
	v_readfirstlane_b32 s6, v0
	v_readfirstlane_b32 s7, v1
	s_add_nc_u64 s[0:1], s[6:7], 1
	s_delay_alu instid0(SALU_CYCLE_1) | instskip(NEXT) | instid1(SALU_CYCLE_1)
	s_add_nc_u64 s[4:5], s[0:1], s[4:5]
	s_cmp_eq_u64 s[4:5], 0
	s_cselect_b32 s1, s1, s5
	s_cselect_b32 s0, s0, s4
	v_mov_b32_e32 v9, s1
	s_and_b64 s[4:5], s[0:1], s[6:7]
	v_mov_b32_e32 v8, s0
	s_mul_u64 s[4:5], s[4:5], 24
	s_wait_loadcnt 0x0
	v_add_nc_u64_e32 v[4:5], s[4:5], v[2:3]
	global_store_b64 v[4:5], v[10:11], off
	global_wb scope:SCOPE_SYS
	s_wait_storecnt 0x0
	s_wait_xcnt 0x0
	global_atomic_cmpswap_b64 v[2:3], v6, v[8:11], s[2:3] offset:24 th:TH_ATOMIC_RETURN scope:SCOPE_SYS
	s_wait_loadcnt 0x0
	v_cmp_ne_u64_e32 vcc_lo, v[2:3], v[10:11]
	s_and_b32 exec_lo, exec_lo, vcc_lo
	s_cbranch_execz .LBB9_136
; %bb.134:
	s_mov_b32 s4, 0
.LBB9_135:                              ; =>This Inner Loop Header: Depth=1
	v_dual_mov_b32 v0, s0 :: v_dual_mov_b32 v1, s1
	s_sleep 1
	global_store_b64 v[4:5], v[2:3], off
	global_wb scope:SCOPE_SYS
	s_wait_storecnt 0x0
	s_wait_xcnt 0x0
	global_atomic_cmpswap_b64 v[0:1], v6, v[0:3], s[2:3] offset:24 th:TH_ATOMIC_RETURN scope:SCOPE_SYS
	s_wait_loadcnt 0x0
	v_cmp_eq_u64_e32 vcc_lo, v[0:1], v[2:3]
	v_mov_b64_e32 v[2:3], v[0:1]
	s_or_b32 s4, vcc_lo, s4
	s_delay_alu instid0(SALU_CYCLE_1)
	s_and_not1_b32 exec_lo, exec_lo, s4
	s_cbranch_execnz .LBB9_135
.LBB9_136:
	s_endpgm
	.section	.rodata,"a",@progbits
	.p2align	6, 0x0
	.amdhsa_kernel _ZN2at6native30tinygemm_m16n8k16_chunk_kernelINS0_10ALayout_RMILNS0_14KReductionTypeE0EEENS0_15BLayout_TC_int4ILi2ELi256EEES4_Li8ELi8EEEvPKvS8_S8_Pviiiiii
		.amdhsa_group_segment_fixed_size 0
		.amdhsa_private_segment_fixed_size 0
		.amdhsa_kernarg_size 312
		.amdhsa_user_sgpr_count 2
		.amdhsa_user_sgpr_dispatch_ptr 0
		.amdhsa_user_sgpr_queue_ptr 0
		.amdhsa_user_sgpr_kernarg_segment_ptr 1
		.amdhsa_user_sgpr_dispatch_id 0
		.amdhsa_user_sgpr_kernarg_preload_length 0
		.amdhsa_user_sgpr_kernarg_preload_offset 0
		.amdhsa_user_sgpr_private_segment_size 0
		.amdhsa_wavefront_size32 1
		.amdhsa_uses_dynamic_stack 0
		.amdhsa_enable_private_segment 0
		.amdhsa_system_sgpr_workgroup_id_x 1
		.amdhsa_system_sgpr_workgroup_id_y 0
		.amdhsa_system_sgpr_workgroup_id_z 0
		.amdhsa_system_sgpr_workgroup_info 0
		.amdhsa_system_vgpr_workitem_id 0
		.amdhsa_next_free_vgpr 33
		.amdhsa_next_free_sgpr 18
		.amdhsa_named_barrier_count 0
		.amdhsa_reserve_vcc 1
		.amdhsa_float_round_mode_32 0
		.amdhsa_float_round_mode_16_64 0
		.amdhsa_float_denorm_mode_32 3
		.amdhsa_float_denorm_mode_16_64 3
		.amdhsa_fp16_overflow 0
		.amdhsa_memory_ordered 1
		.amdhsa_forward_progress 1
		.amdhsa_inst_pref_size 43
		.amdhsa_round_robin_scheduling 0
		.amdhsa_exception_fp_ieee_invalid_op 0
		.amdhsa_exception_fp_denorm_src 0
		.amdhsa_exception_fp_ieee_div_zero 0
		.amdhsa_exception_fp_ieee_overflow 0
		.amdhsa_exception_fp_ieee_underflow 0
		.amdhsa_exception_fp_ieee_inexact 0
		.amdhsa_exception_int_div_zero 0
	.end_amdhsa_kernel
	.section	.text._ZN2at6native30tinygemm_m16n8k16_chunk_kernelINS0_10ALayout_RMILNS0_14KReductionTypeE0EEENS0_15BLayout_TC_int4ILi2ELi256EEES4_Li8ELi8EEEvPKvS8_S8_Pviiiiii,"axG",@progbits,_ZN2at6native30tinygemm_m16n8k16_chunk_kernelINS0_10ALayout_RMILNS0_14KReductionTypeE0EEENS0_15BLayout_TC_int4ILi2ELi256EEES4_Li8ELi8EEEvPKvS8_S8_Pviiiiii,comdat
.Lfunc_end9:
	.size	_ZN2at6native30tinygemm_m16n8k16_chunk_kernelINS0_10ALayout_RMILNS0_14KReductionTypeE0EEENS0_15BLayout_TC_int4ILi2ELi256EEES4_Li8ELi8EEEvPKvS8_S8_Pviiiiii, .Lfunc_end9-_ZN2at6native30tinygemm_m16n8k16_chunk_kernelINS0_10ALayout_RMILNS0_14KReductionTypeE0EEENS0_15BLayout_TC_int4ILi2ELi256EEES4_Li8ELi8EEEvPKvS8_S8_Pviiiiii
                                        ; -- End function
	.set _ZN2at6native30tinygemm_m16n8k16_chunk_kernelINS0_10ALayout_RMILNS0_14KReductionTypeE0EEENS0_15BLayout_TC_int4ILi2ELi256EEES4_Li8ELi8EEEvPKvS8_S8_Pviiiiii.num_vgpr, 33
	.set _ZN2at6native30tinygemm_m16n8k16_chunk_kernelINS0_10ALayout_RMILNS0_14KReductionTypeE0EEENS0_15BLayout_TC_int4ILi2ELi256EEES4_Li8ELi8EEEvPKvS8_S8_Pviiiiii.num_agpr, 0
	.set _ZN2at6native30tinygemm_m16n8k16_chunk_kernelINS0_10ALayout_RMILNS0_14KReductionTypeE0EEENS0_15BLayout_TC_int4ILi2ELi256EEES4_Li8ELi8EEEvPKvS8_S8_Pviiiiii.numbered_sgpr, 18
	.set _ZN2at6native30tinygemm_m16n8k16_chunk_kernelINS0_10ALayout_RMILNS0_14KReductionTypeE0EEENS0_15BLayout_TC_int4ILi2ELi256EEES4_Li8ELi8EEEvPKvS8_S8_Pviiiiii.num_named_barrier, 0
	.set _ZN2at6native30tinygemm_m16n8k16_chunk_kernelINS0_10ALayout_RMILNS0_14KReductionTypeE0EEENS0_15BLayout_TC_int4ILi2ELi256EEES4_Li8ELi8EEEvPKvS8_S8_Pviiiiii.private_seg_size, 0
	.set _ZN2at6native30tinygemm_m16n8k16_chunk_kernelINS0_10ALayout_RMILNS0_14KReductionTypeE0EEENS0_15BLayout_TC_int4ILi2ELi256EEES4_Li8ELi8EEEvPKvS8_S8_Pviiiiii.uses_vcc, 1
	.set _ZN2at6native30tinygemm_m16n8k16_chunk_kernelINS0_10ALayout_RMILNS0_14KReductionTypeE0EEENS0_15BLayout_TC_int4ILi2ELi256EEES4_Li8ELi8EEEvPKvS8_S8_Pviiiiii.uses_flat_scratch, 0
	.set _ZN2at6native30tinygemm_m16n8k16_chunk_kernelINS0_10ALayout_RMILNS0_14KReductionTypeE0EEENS0_15BLayout_TC_int4ILi2ELi256EEES4_Li8ELi8EEEvPKvS8_S8_Pviiiiii.has_dyn_sized_stack, 0
	.set _ZN2at6native30tinygemm_m16n8k16_chunk_kernelINS0_10ALayout_RMILNS0_14KReductionTypeE0EEENS0_15BLayout_TC_int4ILi2ELi256EEES4_Li8ELi8EEEvPKvS8_S8_Pviiiiii.has_recursion, 0
	.set _ZN2at6native30tinygemm_m16n8k16_chunk_kernelINS0_10ALayout_RMILNS0_14KReductionTypeE0EEENS0_15BLayout_TC_int4ILi2ELi256EEES4_Li8ELi8EEEvPKvS8_S8_Pviiiiii.has_indirect_call, 0
	.section	.AMDGPU.csdata,"",@progbits
; Kernel info:
; codeLenInByte = 5440
; TotalNumSgprs: 20
; NumVgprs: 33
; ScratchSize: 0
; MemoryBound: 0
; FloatMode: 240
; IeeeMode: 1
; LDSByteSize: 0 bytes/workgroup (compile time only)
; SGPRBlocks: 0
; VGPRBlocks: 2
; NumSGPRsForWavesPerEU: 20
; NumVGPRsForWavesPerEU: 33
; NamedBarCnt: 0
; Occupancy: 16
; WaveLimiterHint : 1
; COMPUTE_PGM_RSRC2:SCRATCH_EN: 0
; COMPUTE_PGM_RSRC2:USER_SGPR: 2
; COMPUTE_PGM_RSRC2:TRAP_HANDLER: 0
; COMPUTE_PGM_RSRC2:TGID_X_EN: 1
; COMPUTE_PGM_RSRC2:TGID_Y_EN: 0
; COMPUTE_PGM_RSRC2:TGID_Z_EN: 0
; COMPUTE_PGM_RSRC2:TIDIG_COMP_CNT: 0
	.section	.text._ZN2at6native30tinygemm_m16n8k16_chunk_kernelINS0_10ALayout_RMILNS0_14KReductionTypeE0EEENS0_15BLayout_TC_int4ILi4ELi256EEES4_Li8ELi8EEEvPKvS8_S8_Pviiiiii,"axG",@progbits,_ZN2at6native30tinygemm_m16n8k16_chunk_kernelINS0_10ALayout_RMILNS0_14KReductionTypeE0EEENS0_15BLayout_TC_int4ILi4ELi256EEES4_Li8ELi8EEEvPKvS8_S8_Pviiiiii,comdat
	.protected	_ZN2at6native30tinygemm_m16n8k16_chunk_kernelINS0_10ALayout_RMILNS0_14KReductionTypeE0EEENS0_15BLayout_TC_int4ILi4ELi256EEES4_Li8ELi8EEEvPKvS8_S8_Pviiiiii ; -- Begin function _ZN2at6native30tinygemm_m16n8k16_chunk_kernelINS0_10ALayout_RMILNS0_14KReductionTypeE0EEENS0_15BLayout_TC_int4ILi4ELi256EEES4_Li8ELi8EEEvPKvS8_S8_Pviiiiii
	.globl	_ZN2at6native30tinygemm_m16n8k16_chunk_kernelINS0_10ALayout_RMILNS0_14KReductionTypeE0EEENS0_15BLayout_TC_int4ILi4ELi256EEES4_Li8ELi8EEEvPKvS8_S8_Pviiiiii
	.p2align	8
	.type	_ZN2at6native30tinygemm_m16n8k16_chunk_kernelINS0_10ALayout_RMILNS0_14KReductionTypeE0EEENS0_15BLayout_TC_int4ILi4ELi256EEES4_Li8ELi8EEEvPKvS8_S8_Pviiiiii,@function
_ZN2at6native30tinygemm_m16n8k16_chunk_kernelINS0_10ALayout_RMILNS0_14KReductionTypeE0EEENS0_15BLayout_TC_int4ILi4ELi256EEES4_Li8ELi8EEEvPKvS8_S8_Pviiiiii: ; @_ZN2at6native30tinygemm_m16n8k16_chunk_kernelINS0_10ALayout_RMILNS0_14KReductionTypeE0EEENS0_15BLayout_TC_int4ILi4ELi256EEES4_Li8ELi8EEEvPKvS8_S8_Pviiiiii
; %bb.0:
	s_load_b64 s[2:3], s[0:1], 0x88
	v_mbcnt_lo_u32_b32 v32, -1, 0
	v_mov_b64_e32 v[2:3], 0
	s_wait_xcnt 0x0
	s_delay_alu instid0(VALU_DEP_2) | instskip(NEXT) | instid1(VALU_DEP_1)
	v_readfirstlane_b32 s0, v32
	v_cmp_eq_u32_e64 s0, s0, v32
	s_and_saveexec_b32 s1, s0
	s_cbranch_execz .LBB10_6
; %bb.1:
	v_mov_b32_e32 v0, 0
	s_mov_b32 s4, exec_lo
	s_wait_kmcnt 0x0
	global_load_b64 v[4:5], v0, s[2:3] offset:24 scope:SCOPE_SYS
	s_wait_loadcnt 0x0
	global_inv scope:SCOPE_SYS
	s_clause 0x1
	global_load_b64 v[2:3], v0, s[2:3] offset:40
	global_load_b64 v[6:7], v0, s[2:3]
	s_wait_loadcnt 0x1
	v_and_b32_e32 v2, v2, v4
	v_and_b32_e32 v3, v3, v5
	s_delay_alu instid0(VALU_DEP_1) | instskip(SKIP_1) | instid1(VALU_DEP_1)
	v_mul_u64_e32 v[2:3], 24, v[2:3]
	s_wait_loadcnt 0x0
	v_add_nc_u64_e32 v[2:3], v[6:7], v[2:3]
	global_load_b64 v[2:3], v[2:3], off scope:SCOPE_SYS
	s_wait_xcnt 0x0
	s_wait_loadcnt 0x0
	global_atomic_cmpswap_b64 v[2:3], v0, v[2:5], s[2:3] offset:24 th:TH_ATOMIC_RETURN scope:SCOPE_SYS
	s_wait_loadcnt 0x0
	global_inv scope:SCOPE_SYS
	s_wait_xcnt 0x0
	v_cmpx_ne_u64_e64 v[2:3], v[4:5]
	s_cbranch_execz .LBB10_5
; %bb.2:
	s_mov_b32 s5, 0
.LBB10_3:                               ; =>This Inner Loop Header: Depth=1
	s_sleep 1
	s_clause 0x1
	global_load_b64 v[6:7], v0, s[2:3] offset:40
	global_load_b64 v[8:9], v0, s[2:3]
	v_mov_b64_e32 v[4:5], v[2:3]
	s_wait_loadcnt 0x1
	s_delay_alu instid0(VALU_DEP_1) | instskip(SKIP_1) | instid1(VALU_DEP_1)
	v_and_b32_e32 v1, v6, v4
	s_wait_loadcnt 0x0
	v_mad_nc_u64_u32 v[2:3], v1, 24, v[8:9]
	s_delay_alu instid0(VALU_DEP_3) | instskip(NEXT) | instid1(VALU_DEP_1)
	v_and_b32_e32 v1, v7, v5
	v_mad_u32 v3, v1, 24, v3
	global_load_b64 v[2:3], v[2:3], off scope:SCOPE_SYS
	s_wait_xcnt 0x0
	s_wait_loadcnt 0x0
	global_atomic_cmpswap_b64 v[2:3], v0, v[2:5], s[2:3] offset:24 th:TH_ATOMIC_RETURN scope:SCOPE_SYS
	s_wait_loadcnt 0x0
	global_inv scope:SCOPE_SYS
	v_cmp_eq_u64_e32 vcc_lo, v[2:3], v[4:5]
	s_or_b32 s5, vcc_lo, s5
	s_wait_xcnt 0x0
	s_and_not1_b32 exec_lo, exec_lo, s5
	s_cbranch_execnz .LBB10_3
; %bb.4:
	s_or_b32 exec_lo, exec_lo, s5
.LBB10_5:
	s_delay_alu instid0(SALU_CYCLE_1)
	s_or_b32 exec_lo, exec_lo, s4
.LBB10_6:
	s_delay_alu instid0(SALU_CYCLE_1)
	s_or_b32 exec_lo, exec_lo, s1
	v_readfirstlane_b32 s4, v2
	v_mov_b32_e32 v1, 0
	v_readfirstlane_b32 s5, v3
	s_mov_b32 s1, exec_lo
	s_wait_kmcnt 0x0
	s_clause 0x1
	global_load_b64 v[8:9], v1, s[2:3] offset:40
	global_load_b128 v[4:7], v1, s[2:3]
	s_wait_loadcnt 0x1
	v_and_b32_e32 v10, s4, v8
	v_and_b32_e32 v11, s5, v9
	s_delay_alu instid0(VALU_DEP_1) | instskip(SKIP_1) | instid1(VALU_DEP_1)
	v_mul_u64_e32 v[2:3], 24, v[10:11]
	s_wait_loadcnt 0x0
	v_add_nc_u64_e32 v[8:9], v[4:5], v[2:3]
	s_and_saveexec_b32 s6, s0
	s_cbranch_execz .LBB10_8
; %bb.7:
	v_mov_b64_e32 v[2:3], 0x100000002
	v_mov_b32_e32 v0, s1
	global_store_b128 v[8:9], v[0:3], off offset:8
.LBB10_8:
	s_wait_xcnt 0x0
	s_or_b32 exec_lo, exec_lo, s6
	v_lshlrev_b64_e32 v[2:3], 12, v[10:11]
	s_mov_b32 s8, 0
	v_dual_lshlrev_b32 v0, 6, v32 :: v_dual_mov_b32 v10, 33
	s_mov_b32 s10, s8
	s_mov_b32 s11, s8
	;; [unrolled: 1-line block ×3, first 2 shown]
	s_delay_alu instid0(VALU_DEP_2)
	v_add_nc_u64_e32 v[6:7], v[6:7], v[2:3]
	v_mov_b64_e32 v[16:17], s[10:11]
	v_mov_b64_e32 v[14:15], s[8:9]
	v_dual_mov_b32 v11, v1 :: v_dual_mov_b32 v12, v1
	v_mov_b32_e32 v13, v1
	v_readfirstlane_b32 s6, v6
	v_readfirstlane_b32 s7, v7
	s_clause 0x3
	global_store_b128 v0, v[10:13], s[6:7]
	global_store_b128 v0, v[14:17], s[6:7] offset:16
	global_store_b128 v0, v[14:17], s[6:7] offset:32
	;; [unrolled: 1-line block ×3, first 2 shown]
	s_wait_xcnt 0x0
	s_and_saveexec_b32 s1, s0
	s_cbranch_execz .LBB10_16
; %bb.9:
	v_dual_mov_b32 v12, 0 :: v_dual_mov_b32 v15, s5
	s_mov_b32 s6, exec_lo
	s_clause 0x1
	global_load_b64 v[16:17], v12, s[2:3] offset:32 scope:SCOPE_SYS
	global_load_b64 v[2:3], v12, s[2:3] offset:40
	s_wait_loadcnt 0x0
	v_dual_mov_b32 v14, s4 :: v_dual_bitop2_b32 v3, s5, v3 bitop3:0x40
	v_and_b32_e32 v2, s4, v2
	s_delay_alu instid0(VALU_DEP_1) | instskip(NEXT) | instid1(VALU_DEP_1)
	v_mul_u64_e32 v[2:3], 24, v[2:3]
	v_add_nc_u64_e32 v[10:11], v[4:5], v[2:3]
	global_store_b64 v[10:11], v[16:17], off
	global_wb scope:SCOPE_SYS
	s_wait_storecnt 0x0
	s_wait_xcnt 0x0
	global_atomic_cmpswap_b64 v[4:5], v12, v[14:17], s[2:3] offset:32 th:TH_ATOMIC_RETURN scope:SCOPE_SYS
	s_wait_loadcnt 0x0
	v_cmpx_ne_u64_e64 v[4:5], v[16:17]
	s_cbranch_execz .LBB10_12
; %bb.10:
	s_mov_b32 s7, 0
.LBB10_11:                              ; =>This Inner Loop Header: Depth=1
	v_dual_mov_b32 v2, s4 :: v_dual_mov_b32 v3, s5
	s_sleep 1
	global_store_b64 v[10:11], v[4:5], off
	global_wb scope:SCOPE_SYS
	s_wait_storecnt 0x0
	s_wait_xcnt 0x0
	global_atomic_cmpswap_b64 v[2:3], v12, v[2:5], s[2:3] offset:32 th:TH_ATOMIC_RETURN scope:SCOPE_SYS
	s_wait_loadcnt 0x0
	v_cmp_eq_u64_e32 vcc_lo, v[2:3], v[4:5]
	v_mov_b64_e32 v[4:5], v[2:3]
	s_or_b32 s7, vcc_lo, s7
	s_delay_alu instid0(SALU_CYCLE_1)
	s_and_not1_b32 exec_lo, exec_lo, s7
	s_cbranch_execnz .LBB10_11
.LBB10_12:
	s_or_b32 exec_lo, exec_lo, s6
	v_mov_b32_e32 v5, 0
	s_mov_b32 s7, exec_lo
	s_mov_b32 s6, exec_lo
	v_mbcnt_lo_u32_b32 v4, s7, 0
	global_load_b64 v[2:3], v5, s[2:3] offset:16
	s_wait_xcnt 0x0
	v_cmpx_eq_u32_e32 0, v4
	s_cbranch_execz .LBB10_14
; %bb.13:
	s_bcnt1_i32_b32 s7, s7
	s_delay_alu instid0(SALU_CYCLE_1)
	v_mov_b32_e32 v4, s7
	global_wb scope:SCOPE_SYS
	s_wait_loadcnt 0x0
	s_wait_storecnt 0x0
	global_atomic_add_u64 v[2:3], v[4:5], off offset:8 scope:SCOPE_SYS
.LBB10_14:
	s_wait_xcnt 0x0
	s_or_b32 exec_lo, exec_lo, s6
	s_wait_loadcnt 0x0
	global_load_b64 v[4:5], v[2:3], off offset:16
	s_wait_loadcnt 0x0
	v_cmp_eq_u64_e32 vcc_lo, 0, v[4:5]
	s_cbranch_vccnz .LBB10_16
; %bb.15:
	global_load_b32 v2, v[2:3], off offset:24
	s_wait_xcnt 0x0
	v_mov_b32_e32 v3, 0
	s_wait_loadcnt 0x0
	v_readfirstlane_b32 s6, v2
	global_wb scope:SCOPE_SYS
	s_wait_storecnt 0x0
	global_store_b64 v[4:5], v[2:3], off scope:SCOPE_SYS
	s_and_b32 m0, s6, 0xffffff
	s_sendmsg sendmsg(MSG_INTERRUPT)
.LBB10_16:
	s_wait_xcnt 0x0
	s_or_b32 exec_lo, exec_lo, s1
	v_add_nc_u64_e32 v[2:3], v[6:7], v[0:1]
	s_branch .LBB10_20
.LBB10_17:                              ;   in Loop: Header=BB10_20 Depth=1
	s_wait_xcnt 0x0
	s_or_b32 exec_lo, exec_lo, s1
	s_delay_alu instid0(VALU_DEP_1)
	v_readfirstlane_b32 s1, v1
	s_cmp_eq_u32 s1, 0
	s_cbranch_scc1 .LBB10_19
; %bb.18:                               ;   in Loop: Header=BB10_20 Depth=1
	s_sleep 1
	s_cbranch_execnz .LBB10_20
	s_branch .LBB10_22
.LBB10_19:
	s_branch .LBB10_22
.LBB10_20:                              ; =>This Inner Loop Header: Depth=1
	v_mov_b32_e32 v1, 1
	s_and_saveexec_b32 s1, s0
	s_cbranch_execz .LBB10_17
; %bb.21:                               ;   in Loop: Header=BB10_20 Depth=1
	global_load_b32 v1, v[8:9], off offset:20 scope:SCOPE_SYS
	s_wait_loadcnt 0x0
	global_inv scope:SCOPE_SYS
	v_and_b32_e32 v1, 1, v1
	s_branch .LBB10_17
.LBB10_22:
	global_load_b64 v[2:3], v[2:3], off
	s_wait_xcnt 0x0
	s_and_saveexec_b32 s6, s0
	s_cbranch_execz .LBB10_26
; %bb.23:
	v_mov_b32_e32 v1, 0
	s_clause 0x2
	global_load_b64 v[4:5], v1, s[2:3] offset:40
	global_load_b64 v[12:13], v1, s[2:3] offset:24 scope:SCOPE_SYS
	global_load_b64 v[6:7], v1, s[2:3]
	s_wait_loadcnt 0x2
	v_readfirstlane_b32 s8, v4
	v_readfirstlane_b32 s9, v5
	s_add_nc_u64 s[0:1], s[8:9], 1
	s_delay_alu instid0(SALU_CYCLE_1) | instskip(NEXT) | instid1(SALU_CYCLE_1)
	s_add_nc_u64 s[4:5], s[0:1], s[4:5]
	s_cmp_eq_u64 s[4:5], 0
	s_cselect_b32 s1, s1, s5
	s_cselect_b32 s0, s0, s4
	v_mov_b32_e32 v11, s1
	s_and_b64 s[4:5], s[0:1], s[8:9]
	v_mov_b32_e32 v10, s0
	s_mul_u64 s[4:5], s[4:5], 24
	s_wait_loadcnt 0x0
	v_add_nc_u64_e32 v[8:9], s[4:5], v[6:7]
	global_store_b64 v[8:9], v[12:13], off
	global_wb scope:SCOPE_SYS
	s_wait_storecnt 0x0
	s_wait_xcnt 0x0
	global_atomic_cmpswap_b64 v[6:7], v1, v[10:13], s[2:3] offset:24 th:TH_ATOMIC_RETURN scope:SCOPE_SYS
	s_wait_loadcnt 0x0
	v_cmp_ne_u64_e32 vcc_lo, v[6:7], v[12:13]
	s_and_b32 exec_lo, exec_lo, vcc_lo
	s_cbranch_execz .LBB10_26
; %bb.24:
	s_mov_b32 s4, 0
.LBB10_25:                              ; =>This Inner Loop Header: Depth=1
	v_dual_mov_b32 v4, s0 :: v_dual_mov_b32 v5, s1
	s_sleep 1
	global_store_b64 v[8:9], v[6:7], off
	global_wb scope:SCOPE_SYS
	s_wait_storecnt 0x0
	s_wait_xcnt 0x0
	global_atomic_cmpswap_b64 v[4:5], v1, v[4:7], s[2:3] offset:24 th:TH_ATOMIC_RETURN scope:SCOPE_SYS
	s_wait_loadcnt 0x0
	v_cmp_eq_u64_e32 vcc_lo, v[4:5], v[6:7]
	v_mov_b64_e32 v[6:7], v[4:5]
	s_or_b32 s4, vcc_lo, s4
	s_delay_alu instid0(SALU_CYCLE_1)
	s_and_not1_b32 exec_lo, exec_lo, s4
	s_cbranch_execnz .LBB10_25
.LBB10_26:
	s_or_b32 exec_lo, exec_lo, s6
	s_get_pc_i64 s[4:5]
	s_add_nc_u64 s[4:5], s[4:5], .str@rel64+4
	s_mov_b64 s[6:7], 0
	s_cmp_lg_u64 s[4:5], 0
	s_cselect_b32 s8, -1, 0
	s_cmp_eq_u64 s[4:5], 0
	s_cbranch_scc1 .LBB10_30
; %bb.27:
	s_get_pc_i64 s[0:1]
	s_add_nc_u64 s[0:1], s[0:1], .str@rel64+3
.LBB10_28:                              ; =>This Inner Loop Header: Depth=1
	s_load_u8 s6, s[0:1], 0x1
	s_wait_xcnt 0x0
	s_add_nc_u64 s[0:1], s[0:1], 1
	s_wait_kmcnt 0x0
	s_cmp_lg_u32 s6, 0
	s_cbranch_scc1 .LBB10_28
; %bb.29:
	s_get_pc_i64 s[6:7]
	s_add_nc_u64 s[6:7], s[6:7], .str@rel64+4
	s_delay_alu instid0(SALU_CYCLE_1) | instskip(NEXT) | instid1(SALU_CYCLE_1)
	s_sub_nc_u64 s[0:1], s[0:1], s[6:7]
	s_add_nc_u64 s[6:7], s[0:1], 1
.LBB10_30:
	s_and_b32 vcc_lo, exec_lo, s8
	s_cbranch_vccz .LBB10_109
; %bb.31:
	v_mov_b64_e32 v[6:7], 0x100000002
	s_wait_loadcnt 0x0
	v_dual_mov_b32 v9, v3 :: v_dual_bitop2_b32 v8, -3, v2 bitop3:0x40
	v_mov_b32_e32 v5, 0
	s_branch .LBB10_33
.LBB10_32:                              ;   in Loop: Header=BB10_33 Depth=1
	s_or_b32 exec_lo, exec_lo, s12
	s_sub_nc_u64 s[6:7], s[6:7], s[8:9]
	s_add_nc_u64 s[4:5], s[4:5], s[8:9]
	s_cmp_lg_u64 s[6:7], 0
	s_cbranch_scc0 .LBB10_108
.LBB10_33:                              ; =>This Loop Header: Depth=1
                                        ;     Child Loop BB10_36 Depth 2
                                        ;     Child Loop BB10_43 Depth 2
	;; [unrolled: 1-line block ×11, first 2 shown]
	s_wait_loadcnt 0x0
	v_min_u64 v[10:11], s[6:7], 56
	v_cmp_gt_u64_e64 s0, s[6:7], 7
	s_and_b32 vcc_lo, exec_lo, s0
	v_readfirstlane_b32 s8, v10
	v_readfirstlane_b32 s9, v11
	s_cbranch_vccnz .LBB10_38
; %bb.34:                               ;   in Loop: Header=BB10_33 Depth=1
	v_mov_b64_e32 v[10:11], 0
	s_cmp_eq_u64 s[6:7], 0
	s_cbranch_scc1 .LBB10_37
; %bb.35:                               ;   in Loop: Header=BB10_33 Depth=1
	s_mov_b64 s[0:1], 0
	s_mov_b64 s[10:11], 0
.LBB10_36:                              ;   Parent Loop BB10_33 Depth=1
                                        ; =>  This Inner Loop Header: Depth=2
	s_wait_xcnt 0x0
	s_add_nc_u64 s[12:13], s[4:5], s[10:11]
	s_add_nc_u64 s[10:11], s[10:11], 1
	global_load_u8 v1, v5, s[12:13]
	s_cmp_lg_u32 s8, s10
	s_wait_loadcnt 0x0
	v_and_b32_e32 v4, 0xffff, v1
	s_delay_alu instid0(VALU_DEP_1) | instskip(SKIP_1) | instid1(VALU_DEP_1)
	v_lshlrev_b64_e32 v[12:13], s0, v[4:5]
	s_add_nc_u64 s[0:1], s[0:1], 8
	v_or_b32_e32 v10, v12, v10
	s_delay_alu instid0(VALU_DEP_2)
	v_or_b32_e32 v11, v13, v11
	s_cbranch_scc1 .LBB10_36
.LBB10_37:                              ;   in Loop: Header=BB10_33 Depth=1
	s_mov_b64 s[10:11], s[4:5]
	s_mov_b32 s14, 0
	s_cbranch_execz .LBB10_39
	s_branch .LBB10_40
.LBB10_38:                              ;   in Loop: Header=BB10_33 Depth=1
	s_add_nc_u64 s[10:11], s[4:5], 8
	s_mov_b32 s14, 0
.LBB10_39:                              ;   in Loop: Header=BB10_33 Depth=1
	global_load_b64 v[10:11], v5, s[4:5]
	s_add_co_i32 s14, s8, -8
.LBB10_40:                              ;   in Loop: Header=BB10_33 Depth=1
	s_delay_alu instid0(SALU_CYCLE_1)
	s_cmp_gt_u32 s14, 7
	s_cbranch_scc1 .LBB10_45
; %bb.41:                               ;   in Loop: Header=BB10_33 Depth=1
	v_mov_b64_e32 v[12:13], 0
	s_cmp_eq_u32 s14, 0
	s_cbranch_scc1 .LBB10_44
; %bb.42:                               ;   in Loop: Header=BB10_33 Depth=1
	s_mov_b64 s[0:1], 0
	s_wait_xcnt 0x0
	s_mov_b64 s[12:13], 0
.LBB10_43:                              ;   Parent Loop BB10_33 Depth=1
                                        ; =>  This Inner Loop Header: Depth=2
	s_wait_xcnt 0x0
	s_add_nc_u64 s[16:17], s[10:11], s[12:13]
	s_add_nc_u64 s[12:13], s[12:13], 1
	global_load_u8 v1, v5, s[16:17]
	s_cmp_lg_u32 s14, s12
	s_wait_loadcnt 0x0
	v_and_b32_e32 v4, 0xffff, v1
	s_delay_alu instid0(VALU_DEP_1) | instskip(SKIP_1) | instid1(VALU_DEP_1)
	v_lshlrev_b64_e32 v[14:15], s0, v[4:5]
	s_add_nc_u64 s[0:1], s[0:1], 8
	v_or_b32_e32 v12, v14, v12
	s_delay_alu instid0(VALU_DEP_2)
	v_or_b32_e32 v13, v15, v13
	s_cbranch_scc1 .LBB10_43
.LBB10_44:                              ;   in Loop: Header=BB10_33 Depth=1
	s_wait_xcnt 0x0
	s_mov_b64 s[0:1], s[10:11]
	s_mov_b32 s15, 0
	s_cbranch_execz .LBB10_46
	s_branch .LBB10_47
.LBB10_45:                              ;   in Loop: Header=BB10_33 Depth=1
	s_add_nc_u64 s[0:1], s[10:11], 8
	s_wait_xcnt 0x0
                                        ; implicit-def: $vgpr12_vgpr13
	s_mov_b32 s15, 0
.LBB10_46:                              ;   in Loop: Header=BB10_33 Depth=1
	global_load_b64 v[12:13], v5, s[10:11]
	s_add_co_i32 s15, s14, -8
.LBB10_47:                              ;   in Loop: Header=BB10_33 Depth=1
	s_delay_alu instid0(SALU_CYCLE_1)
	s_cmp_gt_u32 s15, 7
	s_cbranch_scc1 .LBB10_52
; %bb.48:                               ;   in Loop: Header=BB10_33 Depth=1
	v_mov_b64_e32 v[14:15], 0
	s_cmp_eq_u32 s15, 0
	s_cbranch_scc1 .LBB10_51
; %bb.49:                               ;   in Loop: Header=BB10_33 Depth=1
	s_wait_xcnt 0x0
	s_mov_b64 s[10:11], 0
	s_mov_b64 s[12:13], 0
.LBB10_50:                              ;   Parent Loop BB10_33 Depth=1
                                        ; =>  This Inner Loop Header: Depth=2
	s_wait_xcnt 0x0
	s_add_nc_u64 s[16:17], s[0:1], s[12:13]
	s_add_nc_u64 s[12:13], s[12:13], 1
	global_load_u8 v1, v5, s[16:17]
	s_cmp_lg_u32 s15, s12
	s_wait_loadcnt 0x0
	v_and_b32_e32 v4, 0xffff, v1
	s_delay_alu instid0(VALU_DEP_1) | instskip(SKIP_1) | instid1(VALU_DEP_1)
	v_lshlrev_b64_e32 v[16:17], s10, v[4:5]
	s_add_nc_u64 s[10:11], s[10:11], 8
	v_or_b32_e32 v14, v16, v14
	s_delay_alu instid0(VALU_DEP_2)
	v_or_b32_e32 v15, v17, v15
	s_cbranch_scc1 .LBB10_50
.LBB10_51:                              ;   in Loop: Header=BB10_33 Depth=1
	s_wait_xcnt 0x0
	s_mov_b64 s[10:11], s[0:1]
	s_mov_b32 s14, 0
	s_cbranch_execz .LBB10_53
	s_branch .LBB10_54
.LBB10_52:                              ;   in Loop: Header=BB10_33 Depth=1
	s_wait_xcnt 0x0
	s_add_nc_u64 s[10:11], s[0:1], 8
	s_mov_b32 s14, 0
.LBB10_53:                              ;   in Loop: Header=BB10_33 Depth=1
	global_load_b64 v[14:15], v5, s[0:1]
	s_add_co_i32 s14, s15, -8
.LBB10_54:                              ;   in Loop: Header=BB10_33 Depth=1
	s_delay_alu instid0(SALU_CYCLE_1)
	s_cmp_gt_u32 s14, 7
	s_cbranch_scc1 .LBB10_59
; %bb.55:                               ;   in Loop: Header=BB10_33 Depth=1
	v_mov_b64_e32 v[16:17], 0
	s_cmp_eq_u32 s14, 0
	s_cbranch_scc1 .LBB10_58
; %bb.56:                               ;   in Loop: Header=BB10_33 Depth=1
	s_wait_xcnt 0x0
	s_mov_b64 s[0:1], 0
	s_mov_b64 s[12:13], 0
.LBB10_57:                              ;   Parent Loop BB10_33 Depth=1
                                        ; =>  This Inner Loop Header: Depth=2
	s_wait_xcnt 0x0
	s_add_nc_u64 s[16:17], s[10:11], s[12:13]
	s_add_nc_u64 s[12:13], s[12:13], 1
	global_load_u8 v1, v5, s[16:17]
	s_cmp_lg_u32 s14, s12
	s_wait_loadcnt 0x0
	v_and_b32_e32 v4, 0xffff, v1
	s_delay_alu instid0(VALU_DEP_1) | instskip(SKIP_1) | instid1(VALU_DEP_1)
	v_lshlrev_b64_e32 v[18:19], s0, v[4:5]
	s_add_nc_u64 s[0:1], s[0:1], 8
	v_or_b32_e32 v16, v18, v16
	s_delay_alu instid0(VALU_DEP_2)
	v_or_b32_e32 v17, v19, v17
	s_cbranch_scc1 .LBB10_57
.LBB10_58:                              ;   in Loop: Header=BB10_33 Depth=1
	s_wait_xcnt 0x0
	s_mov_b64 s[0:1], s[10:11]
	s_mov_b32 s15, 0
	s_cbranch_execz .LBB10_60
	s_branch .LBB10_61
.LBB10_59:                              ;   in Loop: Header=BB10_33 Depth=1
	s_wait_xcnt 0x0
	s_add_nc_u64 s[0:1], s[10:11], 8
                                        ; implicit-def: $vgpr16_vgpr17
	s_mov_b32 s15, 0
.LBB10_60:                              ;   in Loop: Header=BB10_33 Depth=1
	global_load_b64 v[16:17], v5, s[10:11]
	s_add_co_i32 s15, s14, -8
.LBB10_61:                              ;   in Loop: Header=BB10_33 Depth=1
	s_delay_alu instid0(SALU_CYCLE_1)
	s_cmp_gt_u32 s15, 7
	s_cbranch_scc1 .LBB10_66
; %bb.62:                               ;   in Loop: Header=BB10_33 Depth=1
	v_mov_b64_e32 v[18:19], 0
	s_cmp_eq_u32 s15, 0
	s_cbranch_scc1 .LBB10_65
; %bb.63:                               ;   in Loop: Header=BB10_33 Depth=1
	s_wait_xcnt 0x0
	s_mov_b64 s[10:11], 0
	s_mov_b64 s[12:13], 0
.LBB10_64:                              ;   Parent Loop BB10_33 Depth=1
                                        ; =>  This Inner Loop Header: Depth=2
	s_wait_xcnt 0x0
	s_add_nc_u64 s[16:17], s[0:1], s[12:13]
	s_add_nc_u64 s[12:13], s[12:13], 1
	global_load_u8 v1, v5, s[16:17]
	s_cmp_lg_u32 s15, s12
	s_wait_loadcnt 0x0
	v_and_b32_e32 v4, 0xffff, v1
	s_delay_alu instid0(VALU_DEP_1) | instskip(SKIP_1) | instid1(VALU_DEP_1)
	v_lshlrev_b64_e32 v[20:21], s10, v[4:5]
	s_add_nc_u64 s[10:11], s[10:11], 8
	v_or_b32_e32 v18, v20, v18
	s_delay_alu instid0(VALU_DEP_2)
	v_or_b32_e32 v19, v21, v19
	s_cbranch_scc1 .LBB10_64
.LBB10_65:                              ;   in Loop: Header=BB10_33 Depth=1
	s_wait_xcnt 0x0
	s_mov_b64 s[10:11], s[0:1]
	s_mov_b32 s14, 0
	s_cbranch_execz .LBB10_67
	s_branch .LBB10_68
.LBB10_66:                              ;   in Loop: Header=BB10_33 Depth=1
	s_wait_xcnt 0x0
	s_add_nc_u64 s[10:11], s[0:1], 8
	s_mov_b32 s14, 0
.LBB10_67:                              ;   in Loop: Header=BB10_33 Depth=1
	global_load_b64 v[18:19], v5, s[0:1]
	s_add_co_i32 s14, s15, -8
.LBB10_68:                              ;   in Loop: Header=BB10_33 Depth=1
	s_delay_alu instid0(SALU_CYCLE_1)
	s_cmp_gt_u32 s14, 7
	s_cbranch_scc1 .LBB10_73
; %bb.69:                               ;   in Loop: Header=BB10_33 Depth=1
	v_mov_b64_e32 v[20:21], 0
	s_cmp_eq_u32 s14, 0
	s_cbranch_scc1 .LBB10_72
; %bb.70:                               ;   in Loop: Header=BB10_33 Depth=1
	s_wait_xcnt 0x0
	s_mov_b64 s[0:1], 0
	s_mov_b64 s[12:13], 0
.LBB10_71:                              ;   Parent Loop BB10_33 Depth=1
                                        ; =>  This Inner Loop Header: Depth=2
	s_wait_xcnt 0x0
	s_add_nc_u64 s[16:17], s[10:11], s[12:13]
	s_add_nc_u64 s[12:13], s[12:13], 1
	global_load_u8 v1, v5, s[16:17]
	s_cmp_lg_u32 s14, s12
	s_wait_loadcnt 0x0
	v_and_b32_e32 v4, 0xffff, v1
	s_delay_alu instid0(VALU_DEP_1) | instskip(SKIP_1) | instid1(VALU_DEP_1)
	v_lshlrev_b64_e32 v[22:23], s0, v[4:5]
	s_add_nc_u64 s[0:1], s[0:1], 8
	v_or_b32_e32 v20, v22, v20
	s_delay_alu instid0(VALU_DEP_2)
	v_or_b32_e32 v21, v23, v21
	s_cbranch_scc1 .LBB10_71
.LBB10_72:                              ;   in Loop: Header=BB10_33 Depth=1
	s_wait_xcnt 0x0
	s_mov_b64 s[0:1], s[10:11]
	s_mov_b32 s15, 0
	s_cbranch_execz .LBB10_74
	s_branch .LBB10_75
.LBB10_73:                              ;   in Loop: Header=BB10_33 Depth=1
	s_wait_xcnt 0x0
	s_add_nc_u64 s[0:1], s[10:11], 8
                                        ; implicit-def: $vgpr20_vgpr21
	s_mov_b32 s15, 0
.LBB10_74:                              ;   in Loop: Header=BB10_33 Depth=1
	global_load_b64 v[20:21], v5, s[10:11]
	s_add_co_i32 s15, s14, -8
.LBB10_75:                              ;   in Loop: Header=BB10_33 Depth=1
	s_delay_alu instid0(SALU_CYCLE_1)
	s_cmp_gt_u32 s15, 7
	s_cbranch_scc1 .LBB10_80
; %bb.76:                               ;   in Loop: Header=BB10_33 Depth=1
	v_mov_b64_e32 v[22:23], 0
	s_cmp_eq_u32 s15, 0
	s_cbranch_scc1 .LBB10_79
; %bb.77:                               ;   in Loop: Header=BB10_33 Depth=1
	s_wait_xcnt 0x0
	s_mov_b64 s[10:11], 0
	s_mov_b64 s[12:13], s[0:1]
.LBB10_78:                              ;   Parent Loop BB10_33 Depth=1
                                        ; =>  This Inner Loop Header: Depth=2
	global_load_u8 v1, v5, s[12:13]
	s_add_co_i32 s15, s15, -1
	s_wait_xcnt 0x0
	s_add_nc_u64 s[12:13], s[12:13], 1
	s_cmp_lg_u32 s15, 0
	s_wait_loadcnt 0x0
	v_and_b32_e32 v4, 0xffff, v1
	s_delay_alu instid0(VALU_DEP_1) | instskip(SKIP_1) | instid1(VALU_DEP_1)
	v_lshlrev_b64_e32 v[24:25], s10, v[4:5]
	s_add_nc_u64 s[10:11], s[10:11], 8
	v_or_b32_e32 v22, v24, v22
	s_delay_alu instid0(VALU_DEP_2)
	v_or_b32_e32 v23, v25, v23
	s_cbranch_scc1 .LBB10_78
.LBB10_79:                              ;   in Loop: Header=BB10_33 Depth=1
	s_wait_xcnt 0x0
	s_cbranch_execz .LBB10_81
	s_branch .LBB10_82
.LBB10_80:                              ;   in Loop: Header=BB10_33 Depth=1
	s_wait_xcnt 0x0
.LBB10_81:                              ;   in Loop: Header=BB10_33 Depth=1
	global_load_b64 v[22:23], v5, s[0:1]
.LBB10_82:                              ;   in Loop: Header=BB10_33 Depth=1
	s_wait_xcnt 0x0
	v_readfirstlane_b32 s0, v32
	v_mov_b64_e32 v[28:29], 0
	s_delay_alu instid0(VALU_DEP_2)
	v_cmp_eq_u32_e64 s0, s0, v32
	s_and_saveexec_b32 s1, s0
	s_cbranch_execz .LBB10_88
; %bb.83:                               ;   in Loop: Header=BB10_33 Depth=1
	global_load_b64 v[26:27], v5, s[2:3] offset:24 scope:SCOPE_SYS
	s_wait_loadcnt 0x0
	global_inv scope:SCOPE_SYS
	s_clause 0x1
	global_load_b64 v[24:25], v5, s[2:3] offset:40
	global_load_b64 v[28:29], v5, s[2:3]
	s_mov_b32 s10, exec_lo
	s_wait_loadcnt 0x1
	v_and_b32_e32 v24, v24, v26
	v_and_b32_e32 v25, v25, v27
	s_delay_alu instid0(VALU_DEP_1) | instskip(SKIP_1) | instid1(VALU_DEP_1)
	v_mul_u64_e32 v[24:25], 24, v[24:25]
	s_wait_loadcnt 0x0
	v_add_nc_u64_e32 v[24:25], v[28:29], v[24:25]
	global_load_b64 v[24:25], v[24:25], off scope:SCOPE_SYS
	s_wait_xcnt 0x0
	s_wait_loadcnt 0x0
	global_atomic_cmpswap_b64 v[28:29], v5, v[24:27], s[2:3] offset:24 th:TH_ATOMIC_RETURN scope:SCOPE_SYS
	s_wait_loadcnt 0x0
	global_inv scope:SCOPE_SYS
	s_wait_xcnt 0x0
	v_cmpx_ne_u64_e64 v[28:29], v[26:27]
	s_cbranch_execz .LBB10_87
; %bb.84:                               ;   in Loop: Header=BB10_33 Depth=1
	s_mov_b32 s11, 0
.LBB10_85:                              ;   Parent Loop BB10_33 Depth=1
                                        ; =>  This Inner Loop Header: Depth=2
	s_sleep 1
	s_clause 0x1
	global_load_b64 v[24:25], v5, s[2:3] offset:40
	global_load_b64 v[30:31], v5, s[2:3]
	v_mov_b64_e32 v[26:27], v[28:29]
	s_wait_loadcnt 0x1
	s_delay_alu instid0(VALU_DEP_1) | instskip(SKIP_1) | instid1(VALU_DEP_1)
	v_and_b32_e32 v1, v24, v26
	s_wait_loadcnt 0x0
	v_mad_nc_u64_u32 v[28:29], v1, 24, v[30:31]
	s_delay_alu instid0(VALU_DEP_3) | instskip(NEXT) | instid1(VALU_DEP_1)
	v_and_b32_e32 v1, v25, v27
	v_mad_u32 v29, v1, 24, v29
	global_load_b64 v[24:25], v[28:29], off scope:SCOPE_SYS
	s_wait_xcnt 0x0
	s_wait_loadcnt 0x0
	global_atomic_cmpswap_b64 v[28:29], v5, v[24:27], s[2:3] offset:24 th:TH_ATOMIC_RETURN scope:SCOPE_SYS
	s_wait_loadcnt 0x0
	global_inv scope:SCOPE_SYS
	v_cmp_eq_u64_e32 vcc_lo, v[28:29], v[26:27]
	s_or_b32 s11, vcc_lo, s11
	s_wait_xcnt 0x0
	s_and_not1_b32 exec_lo, exec_lo, s11
	s_cbranch_execnz .LBB10_85
; %bb.86:                               ;   in Loop: Header=BB10_33 Depth=1
	s_or_b32 exec_lo, exec_lo, s11
.LBB10_87:                              ;   in Loop: Header=BB10_33 Depth=1
	s_delay_alu instid0(SALU_CYCLE_1)
	s_or_b32 exec_lo, exec_lo, s10
.LBB10_88:                              ;   in Loop: Header=BB10_33 Depth=1
	s_delay_alu instid0(SALU_CYCLE_1)
	s_or_b32 exec_lo, exec_lo, s1
	s_clause 0x1
	global_load_b64 v[30:31], v5, s[2:3] offset:40
	global_load_b128 v[24:27], v5, s[2:3]
	v_readfirstlane_b32 s10, v28
	v_readfirstlane_b32 s11, v29
	s_mov_b32 s1, exec_lo
	s_wait_loadcnt 0x1
	v_and_b32_e32 v30, s10, v30
	v_and_b32_e32 v31, s11, v31
	s_delay_alu instid0(VALU_DEP_1) | instskip(SKIP_1) | instid1(VALU_DEP_1)
	v_mul_u64_e32 v[28:29], 24, v[30:31]
	s_wait_loadcnt 0x0
	v_add_nc_u64_e32 v[28:29], v[24:25], v[28:29]
	s_wait_xcnt 0x0
	s_and_saveexec_b32 s12, s0
	s_cbranch_execz .LBB10_90
; %bb.89:                               ;   in Loop: Header=BB10_33 Depth=1
	v_mov_b32_e32 v4, s1
	global_store_b128 v[28:29], v[4:7], off offset:8
.LBB10_90:                              ;   in Loop: Header=BB10_33 Depth=1
	s_wait_xcnt 0x0
	s_or_b32 exec_lo, exec_lo, s12
	v_cmp_gt_u64_e64 s1, s[6:7], 56
	v_lshlrev_b64_e32 v[30:31], 12, v[30:31]
	v_and_b32_e32 v1, 0xffffff1f, v8
	s_and_b32 s1, s1, exec_lo
	s_delay_alu instid0(VALU_DEP_2) | instskip(SKIP_4) | instid1(VALU_DEP_2)
	v_add_nc_u64_e32 v[26:27], v[26:27], v[30:31]
	s_cselect_b32 s1, 0, 2
	s_lshl_b32 s12, s8, 2
	v_or_b32_e32 v1, s1, v1
	s_add_co_i32 s1, s12, 28
	v_readfirstlane_b32 s12, v26
	s_delay_alu instid0(VALU_DEP_3) | instskip(NEXT) | instid1(VALU_DEP_3)
	v_readfirstlane_b32 s13, v27
	v_and_or_b32 v8, 0x1e0, s1, v1
	s_clause 0x3
	global_store_b128 v0, v[8:11], s[12:13]
	global_store_b128 v0, v[12:15], s[12:13] offset:16
	global_store_b128 v0, v[16:19], s[12:13] offset:32
	;; [unrolled: 1-line block ×3, first 2 shown]
	s_wait_xcnt 0x0
	s_and_saveexec_b32 s1, s0
	s_cbranch_execz .LBB10_98
; %bb.91:                               ;   in Loop: Header=BB10_33 Depth=1
	s_clause 0x1
	global_load_b64 v[16:17], v5, s[2:3] offset:32 scope:SCOPE_SYS
	global_load_b64 v[8:9], v5, s[2:3] offset:40
	s_mov_b32 s12, exec_lo
	v_dual_mov_b32 v14, s10 :: v_dual_mov_b32 v15, s11
	s_wait_loadcnt 0x0
	v_and_b32_e32 v9, s11, v9
	v_and_b32_e32 v8, s10, v8
	s_delay_alu instid0(VALU_DEP_1) | instskip(NEXT) | instid1(VALU_DEP_1)
	v_mul_u64_e32 v[8:9], 24, v[8:9]
	v_add_nc_u64_e32 v[12:13], v[24:25], v[8:9]
	global_store_b64 v[12:13], v[16:17], off
	global_wb scope:SCOPE_SYS
	s_wait_storecnt 0x0
	s_wait_xcnt 0x0
	global_atomic_cmpswap_b64 v[10:11], v5, v[14:17], s[2:3] offset:32 th:TH_ATOMIC_RETURN scope:SCOPE_SYS
	s_wait_loadcnt 0x0
	v_cmpx_ne_u64_e64 v[10:11], v[16:17]
	s_cbranch_execz .LBB10_94
; %bb.92:                               ;   in Loop: Header=BB10_33 Depth=1
	s_mov_b32 s13, 0
.LBB10_93:                              ;   Parent Loop BB10_33 Depth=1
                                        ; =>  This Inner Loop Header: Depth=2
	v_dual_mov_b32 v8, s10 :: v_dual_mov_b32 v9, s11
	s_sleep 1
	global_store_b64 v[12:13], v[10:11], off
	global_wb scope:SCOPE_SYS
	s_wait_storecnt 0x0
	s_wait_xcnt 0x0
	global_atomic_cmpswap_b64 v[8:9], v5, v[8:11], s[2:3] offset:32 th:TH_ATOMIC_RETURN scope:SCOPE_SYS
	s_wait_loadcnt 0x0
	v_cmp_eq_u64_e32 vcc_lo, v[8:9], v[10:11]
	v_mov_b64_e32 v[10:11], v[8:9]
	s_or_b32 s13, vcc_lo, s13
	s_delay_alu instid0(SALU_CYCLE_1)
	s_and_not1_b32 exec_lo, exec_lo, s13
	s_cbranch_execnz .LBB10_93
.LBB10_94:                              ;   in Loop: Header=BB10_33 Depth=1
	s_or_b32 exec_lo, exec_lo, s12
	global_load_b64 v[8:9], v5, s[2:3] offset:16
	s_mov_b32 s13, exec_lo
	s_mov_b32 s12, exec_lo
	v_mbcnt_lo_u32_b32 v1, s13, 0
	s_wait_xcnt 0x0
	s_delay_alu instid0(VALU_DEP_1)
	v_cmpx_eq_u32_e32 0, v1
	s_cbranch_execz .LBB10_96
; %bb.95:                               ;   in Loop: Header=BB10_33 Depth=1
	s_bcnt1_i32_b32 s13, s13
	s_delay_alu instid0(SALU_CYCLE_1)
	v_mov_b32_e32 v4, s13
	global_wb scope:SCOPE_SYS
	s_wait_loadcnt 0x0
	s_wait_storecnt 0x0
	global_atomic_add_u64 v[8:9], v[4:5], off offset:8 scope:SCOPE_SYS
.LBB10_96:                              ;   in Loop: Header=BB10_33 Depth=1
	s_wait_xcnt 0x0
	s_or_b32 exec_lo, exec_lo, s12
	s_wait_loadcnt 0x0
	global_load_b64 v[10:11], v[8:9], off offset:16
	s_wait_loadcnt 0x0
	v_cmp_eq_u64_e32 vcc_lo, 0, v[10:11]
	s_cbranch_vccnz .LBB10_98
; %bb.97:                               ;   in Loop: Header=BB10_33 Depth=1
	global_load_b32 v4, v[8:9], off offset:24
	s_wait_loadcnt 0x0
	v_readfirstlane_b32 s12, v4
	global_wb scope:SCOPE_SYS
	s_wait_storecnt 0x0
	s_wait_xcnt 0x0
	global_store_b64 v[10:11], v[4:5], off scope:SCOPE_SYS
	s_and_b32 m0, s12, 0xffffff
	s_sendmsg sendmsg(MSG_INTERRUPT)
.LBB10_98:                              ;   in Loop: Header=BB10_33 Depth=1
	s_wait_xcnt 0x0
	s_or_b32 exec_lo, exec_lo, s1
	v_mov_b32_e32 v1, v5
	s_delay_alu instid0(VALU_DEP_1)
	v_add_nc_u64_e32 v[8:9], v[26:27], v[0:1]
	s_branch .LBB10_102
.LBB10_99:                              ;   in Loop: Header=BB10_102 Depth=2
	s_wait_xcnt 0x0
	s_or_b32 exec_lo, exec_lo, s1
	s_delay_alu instid0(VALU_DEP_1)
	v_readfirstlane_b32 s1, v1
	s_cmp_eq_u32 s1, 0
	s_cbranch_scc1 .LBB10_101
; %bb.100:                              ;   in Loop: Header=BB10_102 Depth=2
	s_sleep 1
	s_cbranch_execnz .LBB10_102
	s_branch .LBB10_104
.LBB10_101:                             ;   in Loop: Header=BB10_33 Depth=1
	s_branch .LBB10_104
.LBB10_102:                             ;   Parent Loop BB10_33 Depth=1
                                        ; =>  This Inner Loop Header: Depth=2
	v_mov_b32_e32 v1, 1
	s_and_saveexec_b32 s1, s0
	s_cbranch_execz .LBB10_99
; %bb.103:                              ;   in Loop: Header=BB10_102 Depth=2
	global_load_b32 v1, v[28:29], off offset:20 scope:SCOPE_SYS
	s_wait_loadcnt 0x0
	global_inv scope:SCOPE_SYS
	v_and_b32_e32 v1, 1, v1
	s_branch .LBB10_99
.LBB10_104:                             ;   in Loop: Header=BB10_33 Depth=1
	global_load_b128 v[8:11], v[8:9], off
	s_wait_xcnt 0x0
	s_and_saveexec_b32 s12, s0
	s_cbranch_execz .LBB10_32
; %bb.105:                              ;   in Loop: Header=BB10_33 Depth=1
	s_wait_loadcnt 0x0
	s_clause 0x2
	global_load_b64 v[10:11], v5, s[2:3] offset:40
	global_load_b64 v[18:19], v5, s[2:3] offset:24 scope:SCOPE_SYS
	global_load_b64 v[12:13], v5, s[2:3]
	s_wait_loadcnt 0x2
	v_readfirstlane_b32 s14, v10
	v_readfirstlane_b32 s15, v11
	s_add_nc_u64 s[0:1], s[14:15], 1
	s_delay_alu instid0(SALU_CYCLE_1) | instskip(NEXT) | instid1(SALU_CYCLE_1)
	s_add_nc_u64 s[10:11], s[0:1], s[10:11]
	s_cmp_eq_u64 s[10:11], 0
	s_cselect_b32 s1, s1, s11
	s_cselect_b32 s0, s0, s10
	s_delay_alu instid0(SALU_CYCLE_1) | instskip(SKIP_1) | instid1(SALU_CYCLE_1)
	v_dual_mov_b32 v17, s1 :: v_dual_mov_b32 v16, s0
	s_and_b64 s[10:11], s[0:1], s[14:15]
	s_mul_u64 s[10:11], s[10:11], 24
	s_wait_loadcnt 0x0
	v_add_nc_u64_e32 v[14:15], s[10:11], v[12:13]
	global_store_b64 v[14:15], v[18:19], off
	global_wb scope:SCOPE_SYS
	s_wait_storecnt 0x0
	s_wait_xcnt 0x0
	global_atomic_cmpswap_b64 v[12:13], v5, v[16:19], s[2:3] offset:24 th:TH_ATOMIC_RETURN scope:SCOPE_SYS
	s_wait_loadcnt 0x0
	v_cmp_ne_u64_e32 vcc_lo, v[12:13], v[18:19]
	s_and_b32 exec_lo, exec_lo, vcc_lo
	s_cbranch_execz .LBB10_32
; %bb.106:                              ;   in Loop: Header=BB10_33 Depth=1
	s_mov_b32 s10, 0
.LBB10_107:                             ;   Parent Loop BB10_33 Depth=1
                                        ; =>  This Inner Loop Header: Depth=2
	v_dual_mov_b32 v10, s0 :: v_dual_mov_b32 v11, s1
	s_sleep 1
	global_store_b64 v[14:15], v[12:13], off
	global_wb scope:SCOPE_SYS
	s_wait_storecnt 0x0
	s_wait_xcnt 0x0
	global_atomic_cmpswap_b64 v[10:11], v5, v[10:13], s[2:3] offset:24 th:TH_ATOMIC_RETURN scope:SCOPE_SYS
	s_wait_loadcnt 0x0
	v_cmp_eq_u64_e32 vcc_lo, v[10:11], v[12:13]
	v_mov_b64_e32 v[12:13], v[10:11]
	s_or_b32 s10, vcc_lo, s10
	s_delay_alu instid0(SALU_CYCLE_1)
	s_and_not1_b32 exec_lo, exec_lo, s10
	s_cbranch_execnz .LBB10_107
	s_branch .LBB10_32
.LBB10_108:
	s_branch .LBB10_136
.LBB10_109:
	s_cbranch_execz .LBB10_136
; %bb.110:
	v_readfirstlane_b32 s0, v32
	s_wait_loadcnt 0x0
	v_mov_b64_e32 v[10:11], 0
	s_delay_alu instid0(VALU_DEP_2)
	v_cmp_eq_u32_e64 s0, s0, v32
	s_and_saveexec_b32 s1, s0
	s_cbranch_execz .LBB10_116
; %bb.111:
	v_mov_b32_e32 v1, 0
	s_mov_b32 s4, exec_lo
	global_load_b64 v[6:7], v1, s[2:3] offset:24 scope:SCOPE_SYS
	s_wait_loadcnt 0x0
	global_inv scope:SCOPE_SYS
	s_clause 0x1
	global_load_b64 v[4:5], v1, s[2:3] offset:40
	global_load_b64 v[8:9], v1, s[2:3]
	s_wait_loadcnt 0x1
	v_and_b32_e32 v4, v4, v6
	v_and_b32_e32 v5, v5, v7
	s_delay_alu instid0(VALU_DEP_1) | instskip(SKIP_1) | instid1(VALU_DEP_1)
	v_mul_u64_e32 v[4:5], 24, v[4:5]
	s_wait_loadcnt 0x0
	v_add_nc_u64_e32 v[4:5], v[8:9], v[4:5]
	global_load_b64 v[4:5], v[4:5], off scope:SCOPE_SYS
	s_wait_xcnt 0x0
	s_wait_loadcnt 0x0
	global_atomic_cmpswap_b64 v[10:11], v1, v[4:7], s[2:3] offset:24 th:TH_ATOMIC_RETURN scope:SCOPE_SYS
	s_wait_loadcnt 0x0
	global_inv scope:SCOPE_SYS
	s_wait_xcnt 0x0
	v_cmpx_ne_u64_e64 v[10:11], v[6:7]
	s_cbranch_execz .LBB10_115
; %bb.112:
	s_mov_b32 s5, 0
.LBB10_113:                             ; =>This Inner Loop Header: Depth=1
	s_sleep 1
	s_clause 0x1
	global_load_b64 v[4:5], v1, s[2:3] offset:40
	global_load_b64 v[8:9], v1, s[2:3]
	v_mov_b64_e32 v[6:7], v[10:11]
	s_wait_loadcnt 0x1
	s_delay_alu instid0(VALU_DEP_1) | instskip(SKIP_1) | instid1(VALU_DEP_1)
	v_and_b32_e32 v4, v4, v6
	s_wait_loadcnt 0x0
	v_mad_nc_u64_u32 v[8:9], v4, 24, v[8:9]
	s_delay_alu instid0(VALU_DEP_3) | instskip(NEXT) | instid1(VALU_DEP_1)
	v_and_b32_e32 v4, v5, v7
	v_mad_u32 v9, v4, 24, v9
	global_load_b64 v[4:5], v[8:9], off scope:SCOPE_SYS
	s_wait_xcnt 0x0
	s_wait_loadcnt 0x0
	global_atomic_cmpswap_b64 v[10:11], v1, v[4:7], s[2:3] offset:24 th:TH_ATOMIC_RETURN scope:SCOPE_SYS
	s_wait_loadcnt 0x0
	global_inv scope:SCOPE_SYS
	v_cmp_eq_u64_e32 vcc_lo, v[10:11], v[6:7]
	s_or_b32 s5, vcc_lo, s5
	s_wait_xcnt 0x0
	s_and_not1_b32 exec_lo, exec_lo, s5
	s_cbranch_execnz .LBB10_113
; %bb.114:
	s_or_b32 exec_lo, exec_lo, s5
.LBB10_115:
	s_delay_alu instid0(SALU_CYCLE_1)
	s_or_b32 exec_lo, exec_lo, s4
.LBB10_116:
	s_delay_alu instid0(SALU_CYCLE_1)
	s_or_b32 exec_lo, exec_lo, s1
	v_readfirstlane_b32 s4, v10
	v_mov_b32_e32 v4, 0
	v_readfirstlane_b32 s5, v11
	s_mov_b32 s1, exec_lo
	s_clause 0x1
	global_load_b64 v[12:13], v4, s[2:3] offset:40
	global_load_b128 v[6:9], v4, s[2:3]
	s_wait_loadcnt 0x1
	v_and_b32_e32 v12, s4, v12
	v_and_b32_e32 v13, s5, v13
	s_delay_alu instid0(VALU_DEP_1) | instskip(SKIP_1) | instid1(VALU_DEP_1)
	v_mul_u64_e32 v[10:11], 24, v[12:13]
	s_wait_loadcnt 0x0
	v_add_nc_u64_e32 v[10:11], v[6:7], v[10:11]
	s_wait_xcnt 0x0
	s_and_saveexec_b32 s6, s0
	s_cbranch_execz .LBB10_118
; %bb.117:
	v_mov_b64_e32 v[16:17], 0x100000002
	v_dual_mov_b32 v14, s1 :: v_dual_mov_b32 v15, v4
	global_store_b128 v[10:11], v[14:17], off offset:8
.LBB10_118:
	s_wait_xcnt 0x0
	s_or_b32 exec_lo, exec_lo, s6
	v_lshlrev_b64_e32 v[12:13], 12, v[12:13]
	s_mov_b32 s8, 0
	v_and_or_b32 v2, 0xffffff1d, v2, 34
	s_mov_b32 s10, s8
	s_mov_b32 s11, s8
	s_mov_b32 s9, s8
	v_mov_b32_e32 v5, v4
	v_add_nc_u64_e32 v[8:9], v[8:9], v[12:13]
	v_mov_b64_e32 v[14:15], s[10:11]
	v_mov_b64_e32 v[12:13], s[8:9]
	s_delay_alu instid0(VALU_DEP_3) | instskip(NEXT) | instid1(VALU_DEP_4)
	v_readfirstlane_b32 s6, v8
	v_readfirstlane_b32 s7, v9
	s_clause 0x3
	global_store_b128 v0, v[2:5], s[6:7]
	global_store_b128 v0, v[12:15], s[6:7] offset:16
	global_store_b128 v0, v[12:15], s[6:7] offset:32
	;; [unrolled: 1-line block ×3, first 2 shown]
	s_wait_xcnt 0x0
	s_and_saveexec_b32 s1, s0
	s_cbranch_execz .LBB10_126
; %bb.119:
	v_dual_mov_b32 v8, 0 :: v_dual_mov_b32 v13, s5
	s_mov_b32 s6, exec_lo
	s_clause 0x1
	global_load_b64 v[14:15], v8, s[2:3] offset:32 scope:SCOPE_SYS
	global_load_b64 v[0:1], v8, s[2:3] offset:40
	s_wait_loadcnt 0x0
	v_dual_mov_b32 v12, s4 :: v_dual_bitop2_b32 v1, s5, v1 bitop3:0x40
	v_and_b32_e32 v0, s4, v0
	s_delay_alu instid0(VALU_DEP_1) | instskip(NEXT) | instid1(VALU_DEP_1)
	v_mul_u64_e32 v[0:1], 24, v[0:1]
	v_add_nc_u64_e32 v[4:5], v[6:7], v[0:1]
	global_store_b64 v[4:5], v[14:15], off
	global_wb scope:SCOPE_SYS
	s_wait_storecnt 0x0
	s_wait_xcnt 0x0
	global_atomic_cmpswap_b64 v[2:3], v8, v[12:15], s[2:3] offset:32 th:TH_ATOMIC_RETURN scope:SCOPE_SYS
	s_wait_loadcnt 0x0
	v_cmpx_ne_u64_e64 v[2:3], v[14:15]
	s_cbranch_execz .LBB10_122
; %bb.120:
	s_mov_b32 s7, 0
.LBB10_121:                             ; =>This Inner Loop Header: Depth=1
	v_dual_mov_b32 v0, s4 :: v_dual_mov_b32 v1, s5
	s_sleep 1
	global_store_b64 v[4:5], v[2:3], off
	global_wb scope:SCOPE_SYS
	s_wait_storecnt 0x0
	s_wait_xcnt 0x0
	global_atomic_cmpswap_b64 v[0:1], v8, v[0:3], s[2:3] offset:32 th:TH_ATOMIC_RETURN scope:SCOPE_SYS
	s_wait_loadcnt 0x0
	v_cmp_eq_u64_e32 vcc_lo, v[0:1], v[2:3]
	v_mov_b64_e32 v[2:3], v[0:1]
	s_or_b32 s7, vcc_lo, s7
	s_delay_alu instid0(SALU_CYCLE_1)
	s_and_not1_b32 exec_lo, exec_lo, s7
	s_cbranch_execnz .LBB10_121
.LBB10_122:
	s_or_b32 exec_lo, exec_lo, s6
	v_mov_b32_e32 v3, 0
	s_mov_b32 s7, exec_lo
	s_mov_b32 s6, exec_lo
	v_mbcnt_lo_u32_b32 v2, s7, 0
	global_load_b64 v[0:1], v3, s[2:3] offset:16
	s_wait_xcnt 0x0
	v_cmpx_eq_u32_e32 0, v2
	s_cbranch_execz .LBB10_124
; %bb.123:
	s_bcnt1_i32_b32 s7, s7
	s_delay_alu instid0(SALU_CYCLE_1)
	v_mov_b32_e32 v2, s7
	global_wb scope:SCOPE_SYS
	s_wait_loadcnt 0x0
	s_wait_storecnt 0x0
	global_atomic_add_u64 v[0:1], v[2:3], off offset:8 scope:SCOPE_SYS
.LBB10_124:
	s_wait_xcnt 0x0
	s_or_b32 exec_lo, exec_lo, s6
	s_wait_loadcnt 0x0
	global_load_b64 v[2:3], v[0:1], off offset:16
	s_wait_loadcnt 0x0
	v_cmp_eq_u64_e32 vcc_lo, 0, v[2:3]
	s_cbranch_vccnz .LBB10_126
; %bb.125:
	global_load_b32 v0, v[0:1], off offset:24
	s_wait_xcnt 0x0
	v_mov_b32_e32 v1, 0
	s_wait_loadcnt 0x0
	v_readfirstlane_b32 s6, v0
	global_wb scope:SCOPE_SYS
	s_wait_storecnt 0x0
	global_store_b64 v[2:3], v[0:1], off scope:SCOPE_SYS
	s_and_b32 m0, s6, 0xffffff
	s_sendmsg sendmsg(MSG_INTERRUPT)
.LBB10_126:
	s_wait_xcnt 0x0
	s_or_b32 exec_lo, exec_lo, s1
	s_branch .LBB10_130
.LBB10_127:                             ;   in Loop: Header=BB10_130 Depth=1
	s_wait_xcnt 0x0
	s_or_b32 exec_lo, exec_lo, s1
	s_delay_alu instid0(VALU_DEP_1)
	v_readfirstlane_b32 s1, v0
	s_cmp_eq_u32 s1, 0
	s_cbranch_scc1 .LBB10_129
; %bb.128:                              ;   in Loop: Header=BB10_130 Depth=1
	s_sleep 1
	s_cbranch_execnz .LBB10_130
	s_branch .LBB10_132
.LBB10_129:
	s_branch .LBB10_132
.LBB10_130:                             ; =>This Inner Loop Header: Depth=1
	v_mov_b32_e32 v0, 1
	s_and_saveexec_b32 s1, s0
	s_cbranch_execz .LBB10_127
; %bb.131:                              ;   in Loop: Header=BB10_130 Depth=1
	global_load_b32 v0, v[10:11], off offset:20 scope:SCOPE_SYS
	s_wait_loadcnt 0x0
	global_inv scope:SCOPE_SYS
	v_and_b32_e32 v0, 1, v0
	s_branch .LBB10_127
.LBB10_132:
	s_and_saveexec_b32 s1, s0
	s_cbranch_execz .LBB10_136
; %bb.133:
	v_mov_b32_e32 v6, 0
	s_clause 0x2
	global_load_b64 v[0:1], v6, s[2:3] offset:40
	global_load_b64 v[10:11], v6, s[2:3] offset:24 scope:SCOPE_SYS
	global_load_b64 v[2:3], v6, s[2:3]
	s_wait_loadcnt 0x2
	v_readfirstlane_b32 s6, v0
	v_readfirstlane_b32 s7, v1
	s_add_nc_u64 s[0:1], s[6:7], 1
	s_delay_alu instid0(SALU_CYCLE_1) | instskip(NEXT) | instid1(SALU_CYCLE_1)
	s_add_nc_u64 s[4:5], s[0:1], s[4:5]
	s_cmp_eq_u64 s[4:5], 0
	s_cselect_b32 s1, s1, s5
	s_cselect_b32 s0, s0, s4
	v_mov_b32_e32 v9, s1
	s_and_b64 s[4:5], s[0:1], s[6:7]
	v_mov_b32_e32 v8, s0
	s_mul_u64 s[4:5], s[4:5], 24
	s_wait_loadcnt 0x0
	v_add_nc_u64_e32 v[4:5], s[4:5], v[2:3]
	global_store_b64 v[4:5], v[10:11], off
	global_wb scope:SCOPE_SYS
	s_wait_storecnt 0x0
	s_wait_xcnt 0x0
	global_atomic_cmpswap_b64 v[2:3], v6, v[8:11], s[2:3] offset:24 th:TH_ATOMIC_RETURN scope:SCOPE_SYS
	s_wait_loadcnt 0x0
	v_cmp_ne_u64_e32 vcc_lo, v[2:3], v[10:11]
	s_and_b32 exec_lo, exec_lo, vcc_lo
	s_cbranch_execz .LBB10_136
; %bb.134:
	s_mov_b32 s4, 0
.LBB10_135:                             ; =>This Inner Loop Header: Depth=1
	v_dual_mov_b32 v0, s0 :: v_dual_mov_b32 v1, s1
	s_sleep 1
	global_store_b64 v[4:5], v[2:3], off
	global_wb scope:SCOPE_SYS
	s_wait_storecnt 0x0
	s_wait_xcnt 0x0
	global_atomic_cmpswap_b64 v[0:1], v6, v[0:3], s[2:3] offset:24 th:TH_ATOMIC_RETURN scope:SCOPE_SYS
	s_wait_loadcnt 0x0
	v_cmp_eq_u64_e32 vcc_lo, v[0:1], v[2:3]
	v_mov_b64_e32 v[2:3], v[0:1]
	s_or_b32 s4, vcc_lo, s4
	s_delay_alu instid0(SALU_CYCLE_1)
	s_and_not1_b32 exec_lo, exec_lo, s4
	s_cbranch_execnz .LBB10_135
.LBB10_136:
	s_endpgm
	.section	.rodata,"a",@progbits
	.p2align	6, 0x0
	.amdhsa_kernel _ZN2at6native30tinygemm_m16n8k16_chunk_kernelINS0_10ALayout_RMILNS0_14KReductionTypeE0EEENS0_15BLayout_TC_int4ILi4ELi256EEES4_Li8ELi8EEEvPKvS8_S8_Pviiiiii
		.amdhsa_group_segment_fixed_size 0
		.amdhsa_private_segment_fixed_size 0
		.amdhsa_kernarg_size 312
		.amdhsa_user_sgpr_count 2
		.amdhsa_user_sgpr_dispatch_ptr 0
		.amdhsa_user_sgpr_queue_ptr 0
		.amdhsa_user_sgpr_kernarg_segment_ptr 1
		.amdhsa_user_sgpr_dispatch_id 0
		.amdhsa_user_sgpr_kernarg_preload_length 0
		.amdhsa_user_sgpr_kernarg_preload_offset 0
		.amdhsa_user_sgpr_private_segment_size 0
		.amdhsa_wavefront_size32 1
		.amdhsa_uses_dynamic_stack 0
		.amdhsa_enable_private_segment 0
		.amdhsa_system_sgpr_workgroup_id_x 1
		.amdhsa_system_sgpr_workgroup_id_y 0
		.amdhsa_system_sgpr_workgroup_id_z 0
		.amdhsa_system_sgpr_workgroup_info 0
		.amdhsa_system_vgpr_workitem_id 0
		.amdhsa_next_free_vgpr 33
		.amdhsa_next_free_sgpr 18
		.amdhsa_named_barrier_count 0
		.amdhsa_reserve_vcc 1
		.amdhsa_float_round_mode_32 0
		.amdhsa_float_round_mode_16_64 0
		.amdhsa_float_denorm_mode_32 3
		.amdhsa_float_denorm_mode_16_64 3
		.amdhsa_fp16_overflow 0
		.amdhsa_memory_ordered 1
		.amdhsa_forward_progress 1
		.amdhsa_inst_pref_size 43
		.amdhsa_round_robin_scheduling 0
		.amdhsa_exception_fp_ieee_invalid_op 0
		.amdhsa_exception_fp_denorm_src 0
		.amdhsa_exception_fp_ieee_div_zero 0
		.amdhsa_exception_fp_ieee_overflow 0
		.amdhsa_exception_fp_ieee_underflow 0
		.amdhsa_exception_fp_ieee_inexact 0
		.amdhsa_exception_int_div_zero 0
	.end_amdhsa_kernel
	.section	.text._ZN2at6native30tinygemm_m16n8k16_chunk_kernelINS0_10ALayout_RMILNS0_14KReductionTypeE0EEENS0_15BLayout_TC_int4ILi4ELi256EEES4_Li8ELi8EEEvPKvS8_S8_Pviiiiii,"axG",@progbits,_ZN2at6native30tinygemm_m16n8k16_chunk_kernelINS0_10ALayout_RMILNS0_14KReductionTypeE0EEENS0_15BLayout_TC_int4ILi4ELi256EEES4_Li8ELi8EEEvPKvS8_S8_Pviiiiii,comdat
.Lfunc_end10:
	.size	_ZN2at6native30tinygemm_m16n8k16_chunk_kernelINS0_10ALayout_RMILNS0_14KReductionTypeE0EEENS0_15BLayout_TC_int4ILi4ELi256EEES4_Li8ELi8EEEvPKvS8_S8_Pviiiiii, .Lfunc_end10-_ZN2at6native30tinygemm_m16n8k16_chunk_kernelINS0_10ALayout_RMILNS0_14KReductionTypeE0EEENS0_15BLayout_TC_int4ILi4ELi256EEES4_Li8ELi8EEEvPKvS8_S8_Pviiiiii
                                        ; -- End function
	.set _ZN2at6native30tinygemm_m16n8k16_chunk_kernelINS0_10ALayout_RMILNS0_14KReductionTypeE0EEENS0_15BLayout_TC_int4ILi4ELi256EEES4_Li8ELi8EEEvPKvS8_S8_Pviiiiii.num_vgpr, 33
	.set _ZN2at6native30tinygemm_m16n8k16_chunk_kernelINS0_10ALayout_RMILNS0_14KReductionTypeE0EEENS0_15BLayout_TC_int4ILi4ELi256EEES4_Li8ELi8EEEvPKvS8_S8_Pviiiiii.num_agpr, 0
	.set _ZN2at6native30tinygemm_m16n8k16_chunk_kernelINS0_10ALayout_RMILNS0_14KReductionTypeE0EEENS0_15BLayout_TC_int4ILi4ELi256EEES4_Li8ELi8EEEvPKvS8_S8_Pviiiiii.numbered_sgpr, 18
	.set _ZN2at6native30tinygemm_m16n8k16_chunk_kernelINS0_10ALayout_RMILNS0_14KReductionTypeE0EEENS0_15BLayout_TC_int4ILi4ELi256EEES4_Li8ELi8EEEvPKvS8_S8_Pviiiiii.num_named_barrier, 0
	.set _ZN2at6native30tinygemm_m16n8k16_chunk_kernelINS0_10ALayout_RMILNS0_14KReductionTypeE0EEENS0_15BLayout_TC_int4ILi4ELi256EEES4_Li8ELi8EEEvPKvS8_S8_Pviiiiii.private_seg_size, 0
	.set _ZN2at6native30tinygemm_m16n8k16_chunk_kernelINS0_10ALayout_RMILNS0_14KReductionTypeE0EEENS0_15BLayout_TC_int4ILi4ELi256EEES4_Li8ELi8EEEvPKvS8_S8_Pviiiiii.uses_vcc, 1
	.set _ZN2at6native30tinygemm_m16n8k16_chunk_kernelINS0_10ALayout_RMILNS0_14KReductionTypeE0EEENS0_15BLayout_TC_int4ILi4ELi256EEES4_Li8ELi8EEEvPKvS8_S8_Pviiiiii.uses_flat_scratch, 0
	.set _ZN2at6native30tinygemm_m16n8k16_chunk_kernelINS0_10ALayout_RMILNS0_14KReductionTypeE0EEENS0_15BLayout_TC_int4ILi4ELi256EEES4_Li8ELi8EEEvPKvS8_S8_Pviiiiii.has_dyn_sized_stack, 0
	.set _ZN2at6native30tinygemm_m16n8k16_chunk_kernelINS0_10ALayout_RMILNS0_14KReductionTypeE0EEENS0_15BLayout_TC_int4ILi4ELi256EEES4_Li8ELi8EEEvPKvS8_S8_Pviiiiii.has_recursion, 0
	.set _ZN2at6native30tinygemm_m16n8k16_chunk_kernelINS0_10ALayout_RMILNS0_14KReductionTypeE0EEENS0_15BLayout_TC_int4ILi4ELi256EEES4_Li8ELi8EEEvPKvS8_S8_Pviiiiii.has_indirect_call, 0
	.section	.AMDGPU.csdata,"",@progbits
; Kernel info:
; codeLenInByte = 5440
; TotalNumSgprs: 20
; NumVgprs: 33
; ScratchSize: 0
; MemoryBound: 0
; FloatMode: 240
; IeeeMode: 1
; LDSByteSize: 0 bytes/workgroup (compile time only)
; SGPRBlocks: 0
; VGPRBlocks: 2
; NumSGPRsForWavesPerEU: 20
; NumVGPRsForWavesPerEU: 33
; NamedBarCnt: 0
; Occupancy: 16
; WaveLimiterHint : 1
; COMPUTE_PGM_RSRC2:SCRATCH_EN: 0
; COMPUTE_PGM_RSRC2:USER_SGPR: 2
; COMPUTE_PGM_RSRC2:TRAP_HANDLER: 0
; COMPUTE_PGM_RSRC2:TGID_X_EN: 1
; COMPUTE_PGM_RSRC2:TGID_Y_EN: 0
; COMPUTE_PGM_RSRC2:TGID_Z_EN: 0
; COMPUTE_PGM_RSRC2:TIDIG_COMP_CNT: 0
	.section	.text._ZN2at6native30tinygemm_m16n8k16_chunk_kernelINS0_10ALayout_RMILNS0_14KReductionTypeE0EEENS0_15BLayout_TC_int4ILi8ELi256EEES4_Li8ELi8EEEvPKvS8_S8_Pviiiiii,"axG",@progbits,_ZN2at6native30tinygemm_m16n8k16_chunk_kernelINS0_10ALayout_RMILNS0_14KReductionTypeE0EEENS0_15BLayout_TC_int4ILi8ELi256EEES4_Li8ELi8EEEvPKvS8_S8_Pviiiiii,comdat
	.protected	_ZN2at6native30tinygemm_m16n8k16_chunk_kernelINS0_10ALayout_RMILNS0_14KReductionTypeE0EEENS0_15BLayout_TC_int4ILi8ELi256EEES4_Li8ELi8EEEvPKvS8_S8_Pviiiiii ; -- Begin function _ZN2at6native30tinygemm_m16n8k16_chunk_kernelINS0_10ALayout_RMILNS0_14KReductionTypeE0EEENS0_15BLayout_TC_int4ILi8ELi256EEES4_Li8ELi8EEEvPKvS8_S8_Pviiiiii
	.globl	_ZN2at6native30tinygemm_m16n8k16_chunk_kernelINS0_10ALayout_RMILNS0_14KReductionTypeE0EEENS0_15BLayout_TC_int4ILi8ELi256EEES4_Li8ELi8EEEvPKvS8_S8_Pviiiiii
	.p2align	8
	.type	_ZN2at6native30tinygemm_m16n8k16_chunk_kernelINS0_10ALayout_RMILNS0_14KReductionTypeE0EEENS0_15BLayout_TC_int4ILi8ELi256EEES4_Li8ELi8EEEvPKvS8_S8_Pviiiiii,@function
_ZN2at6native30tinygemm_m16n8k16_chunk_kernelINS0_10ALayout_RMILNS0_14KReductionTypeE0EEENS0_15BLayout_TC_int4ILi8ELi256EEES4_Li8ELi8EEEvPKvS8_S8_Pviiiiii: ; @_ZN2at6native30tinygemm_m16n8k16_chunk_kernelINS0_10ALayout_RMILNS0_14KReductionTypeE0EEENS0_15BLayout_TC_int4ILi8ELi256EEES4_Li8ELi8EEEvPKvS8_S8_Pviiiiii
; %bb.0:
	s_load_b64 s[2:3], s[0:1], 0x88
	v_mbcnt_lo_u32_b32 v32, -1, 0
	v_mov_b64_e32 v[2:3], 0
	s_wait_xcnt 0x0
	s_delay_alu instid0(VALU_DEP_2) | instskip(NEXT) | instid1(VALU_DEP_1)
	v_readfirstlane_b32 s0, v32
	v_cmp_eq_u32_e64 s0, s0, v32
	s_and_saveexec_b32 s1, s0
	s_cbranch_execz .LBB11_6
; %bb.1:
	v_mov_b32_e32 v0, 0
	s_mov_b32 s4, exec_lo
	s_wait_kmcnt 0x0
	global_load_b64 v[4:5], v0, s[2:3] offset:24 scope:SCOPE_SYS
	s_wait_loadcnt 0x0
	global_inv scope:SCOPE_SYS
	s_clause 0x1
	global_load_b64 v[2:3], v0, s[2:3] offset:40
	global_load_b64 v[6:7], v0, s[2:3]
	s_wait_loadcnt 0x1
	v_and_b32_e32 v2, v2, v4
	v_and_b32_e32 v3, v3, v5
	s_delay_alu instid0(VALU_DEP_1) | instskip(SKIP_1) | instid1(VALU_DEP_1)
	v_mul_u64_e32 v[2:3], 24, v[2:3]
	s_wait_loadcnt 0x0
	v_add_nc_u64_e32 v[2:3], v[6:7], v[2:3]
	global_load_b64 v[2:3], v[2:3], off scope:SCOPE_SYS
	s_wait_xcnt 0x0
	s_wait_loadcnt 0x0
	global_atomic_cmpswap_b64 v[2:3], v0, v[2:5], s[2:3] offset:24 th:TH_ATOMIC_RETURN scope:SCOPE_SYS
	s_wait_loadcnt 0x0
	global_inv scope:SCOPE_SYS
	s_wait_xcnt 0x0
	v_cmpx_ne_u64_e64 v[2:3], v[4:5]
	s_cbranch_execz .LBB11_5
; %bb.2:
	s_mov_b32 s5, 0
.LBB11_3:                               ; =>This Inner Loop Header: Depth=1
	s_sleep 1
	s_clause 0x1
	global_load_b64 v[6:7], v0, s[2:3] offset:40
	global_load_b64 v[8:9], v0, s[2:3]
	v_mov_b64_e32 v[4:5], v[2:3]
	s_wait_loadcnt 0x1
	s_delay_alu instid0(VALU_DEP_1) | instskip(SKIP_1) | instid1(VALU_DEP_1)
	v_and_b32_e32 v1, v6, v4
	s_wait_loadcnt 0x0
	v_mad_nc_u64_u32 v[2:3], v1, 24, v[8:9]
	s_delay_alu instid0(VALU_DEP_3) | instskip(NEXT) | instid1(VALU_DEP_1)
	v_and_b32_e32 v1, v7, v5
	v_mad_u32 v3, v1, 24, v3
	global_load_b64 v[2:3], v[2:3], off scope:SCOPE_SYS
	s_wait_xcnt 0x0
	s_wait_loadcnt 0x0
	global_atomic_cmpswap_b64 v[2:3], v0, v[2:5], s[2:3] offset:24 th:TH_ATOMIC_RETURN scope:SCOPE_SYS
	s_wait_loadcnt 0x0
	global_inv scope:SCOPE_SYS
	v_cmp_eq_u64_e32 vcc_lo, v[2:3], v[4:5]
	s_or_b32 s5, vcc_lo, s5
	s_wait_xcnt 0x0
	s_and_not1_b32 exec_lo, exec_lo, s5
	s_cbranch_execnz .LBB11_3
; %bb.4:
	s_or_b32 exec_lo, exec_lo, s5
.LBB11_5:
	s_delay_alu instid0(SALU_CYCLE_1)
	s_or_b32 exec_lo, exec_lo, s4
.LBB11_6:
	s_delay_alu instid0(SALU_CYCLE_1)
	s_or_b32 exec_lo, exec_lo, s1
	v_readfirstlane_b32 s4, v2
	v_mov_b32_e32 v1, 0
	v_readfirstlane_b32 s5, v3
	s_mov_b32 s1, exec_lo
	s_wait_kmcnt 0x0
	s_clause 0x1
	global_load_b64 v[8:9], v1, s[2:3] offset:40
	global_load_b128 v[4:7], v1, s[2:3]
	s_wait_loadcnt 0x1
	v_and_b32_e32 v10, s4, v8
	v_and_b32_e32 v11, s5, v9
	s_delay_alu instid0(VALU_DEP_1) | instskip(SKIP_1) | instid1(VALU_DEP_1)
	v_mul_u64_e32 v[2:3], 24, v[10:11]
	s_wait_loadcnt 0x0
	v_add_nc_u64_e32 v[8:9], v[4:5], v[2:3]
	s_and_saveexec_b32 s6, s0
	s_cbranch_execz .LBB11_8
; %bb.7:
	v_mov_b64_e32 v[2:3], 0x100000002
	v_mov_b32_e32 v0, s1
	global_store_b128 v[8:9], v[0:3], off offset:8
.LBB11_8:
	s_wait_xcnt 0x0
	s_or_b32 exec_lo, exec_lo, s6
	v_lshlrev_b64_e32 v[2:3], 12, v[10:11]
	s_mov_b32 s8, 0
	v_dual_lshlrev_b32 v0, 6, v32 :: v_dual_mov_b32 v10, 33
	s_mov_b32 s10, s8
	s_mov_b32 s11, s8
	;; [unrolled: 1-line block ×3, first 2 shown]
	s_delay_alu instid0(VALU_DEP_2)
	v_add_nc_u64_e32 v[6:7], v[6:7], v[2:3]
	v_mov_b64_e32 v[16:17], s[10:11]
	v_mov_b64_e32 v[14:15], s[8:9]
	v_dual_mov_b32 v11, v1 :: v_dual_mov_b32 v12, v1
	v_mov_b32_e32 v13, v1
	v_readfirstlane_b32 s6, v6
	v_readfirstlane_b32 s7, v7
	s_clause 0x3
	global_store_b128 v0, v[10:13], s[6:7]
	global_store_b128 v0, v[14:17], s[6:7] offset:16
	global_store_b128 v0, v[14:17], s[6:7] offset:32
	;; [unrolled: 1-line block ×3, first 2 shown]
	s_wait_xcnt 0x0
	s_and_saveexec_b32 s1, s0
	s_cbranch_execz .LBB11_16
; %bb.9:
	v_dual_mov_b32 v12, 0 :: v_dual_mov_b32 v15, s5
	s_mov_b32 s6, exec_lo
	s_clause 0x1
	global_load_b64 v[16:17], v12, s[2:3] offset:32 scope:SCOPE_SYS
	global_load_b64 v[2:3], v12, s[2:3] offset:40
	s_wait_loadcnt 0x0
	v_dual_mov_b32 v14, s4 :: v_dual_bitop2_b32 v3, s5, v3 bitop3:0x40
	v_and_b32_e32 v2, s4, v2
	s_delay_alu instid0(VALU_DEP_1) | instskip(NEXT) | instid1(VALU_DEP_1)
	v_mul_u64_e32 v[2:3], 24, v[2:3]
	v_add_nc_u64_e32 v[10:11], v[4:5], v[2:3]
	global_store_b64 v[10:11], v[16:17], off
	global_wb scope:SCOPE_SYS
	s_wait_storecnt 0x0
	s_wait_xcnt 0x0
	global_atomic_cmpswap_b64 v[4:5], v12, v[14:17], s[2:3] offset:32 th:TH_ATOMIC_RETURN scope:SCOPE_SYS
	s_wait_loadcnt 0x0
	v_cmpx_ne_u64_e64 v[4:5], v[16:17]
	s_cbranch_execz .LBB11_12
; %bb.10:
	s_mov_b32 s7, 0
.LBB11_11:                              ; =>This Inner Loop Header: Depth=1
	v_dual_mov_b32 v2, s4 :: v_dual_mov_b32 v3, s5
	s_sleep 1
	global_store_b64 v[10:11], v[4:5], off
	global_wb scope:SCOPE_SYS
	s_wait_storecnt 0x0
	s_wait_xcnt 0x0
	global_atomic_cmpswap_b64 v[2:3], v12, v[2:5], s[2:3] offset:32 th:TH_ATOMIC_RETURN scope:SCOPE_SYS
	s_wait_loadcnt 0x0
	v_cmp_eq_u64_e32 vcc_lo, v[2:3], v[4:5]
	v_mov_b64_e32 v[4:5], v[2:3]
	s_or_b32 s7, vcc_lo, s7
	s_delay_alu instid0(SALU_CYCLE_1)
	s_and_not1_b32 exec_lo, exec_lo, s7
	s_cbranch_execnz .LBB11_11
.LBB11_12:
	s_or_b32 exec_lo, exec_lo, s6
	v_mov_b32_e32 v5, 0
	s_mov_b32 s7, exec_lo
	s_mov_b32 s6, exec_lo
	v_mbcnt_lo_u32_b32 v4, s7, 0
	global_load_b64 v[2:3], v5, s[2:3] offset:16
	s_wait_xcnt 0x0
	v_cmpx_eq_u32_e32 0, v4
	s_cbranch_execz .LBB11_14
; %bb.13:
	s_bcnt1_i32_b32 s7, s7
	s_delay_alu instid0(SALU_CYCLE_1)
	v_mov_b32_e32 v4, s7
	global_wb scope:SCOPE_SYS
	s_wait_loadcnt 0x0
	s_wait_storecnt 0x0
	global_atomic_add_u64 v[2:3], v[4:5], off offset:8 scope:SCOPE_SYS
.LBB11_14:
	s_wait_xcnt 0x0
	s_or_b32 exec_lo, exec_lo, s6
	s_wait_loadcnt 0x0
	global_load_b64 v[4:5], v[2:3], off offset:16
	s_wait_loadcnt 0x0
	v_cmp_eq_u64_e32 vcc_lo, 0, v[4:5]
	s_cbranch_vccnz .LBB11_16
; %bb.15:
	global_load_b32 v2, v[2:3], off offset:24
	s_wait_xcnt 0x0
	v_mov_b32_e32 v3, 0
	s_wait_loadcnt 0x0
	v_readfirstlane_b32 s6, v2
	global_wb scope:SCOPE_SYS
	s_wait_storecnt 0x0
	global_store_b64 v[4:5], v[2:3], off scope:SCOPE_SYS
	s_and_b32 m0, s6, 0xffffff
	s_sendmsg sendmsg(MSG_INTERRUPT)
.LBB11_16:
	s_wait_xcnt 0x0
	s_or_b32 exec_lo, exec_lo, s1
	v_add_nc_u64_e32 v[2:3], v[6:7], v[0:1]
	s_branch .LBB11_20
.LBB11_17:                              ;   in Loop: Header=BB11_20 Depth=1
	s_wait_xcnt 0x0
	s_or_b32 exec_lo, exec_lo, s1
	s_delay_alu instid0(VALU_DEP_1)
	v_readfirstlane_b32 s1, v1
	s_cmp_eq_u32 s1, 0
	s_cbranch_scc1 .LBB11_19
; %bb.18:                               ;   in Loop: Header=BB11_20 Depth=1
	s_sleep 1
	s_cbranch_execnz .LBB11_20
	s_branch .LBB11_22
.LBB11_19:
	s_branch .LBB11_22
.LBB11_20:                              ; =>This Inner Loop Header: Depth=1
	v_mov_b32_e32 v1, 1
	s_and_saveexec_b32 s1, s0
	s_cbranch_execz .LBB11_17
; %bb.21:                               ;   in Loop: Header=BB11_20 Depth=1
	global_load_b32 v1, v[8:9], off offset:20 scope:SCOPE_SYS
	s_wait_loadcnt 0x0
	global_inv scope:SCOPE_SYS
	v_and_b32_e32 v1, 1, v1
	s_branch .LBB11_17
.LBB11_22:
	global_load_b64 v[2:3], v[2:3], off
	s_wait_xcnt 0x0
	s_and_saveexec_b32 s6, s0
	s_cbranch_execz .LBB11_26
; %bb.23:
	v_mov_b32_e32 v1, 0
	s_clause 0x2
	global_load_b64 v[4:5], v1, s[2:3] offset:40
	global_load_b64 v[12:13], v1, s[2:3] offset:24 scope:SCOPE_SYS
	global_load_b64 v[6:7], v1, s[2:3]
	s_wait_loadcnt 0x2
	v_readfirstlane_b32 s8, v4
	v_readfirstlane_b32 s9, v5
	s_add_nc_u64 s[0:1], s[8:9], 1
	s_delay_alu instid0(SALU_CYCLE_1) | instskip(NEXT) | instid1(SALU_CYCLE_1)
	s_add_nc_u64 s[4:5], s[0:1], s[4:5]
	s_cmp_eq_u64 s[4:5], 0
	s_cselect_b32 s1, s1, s5
	s_cselect_b32 s0, s0, s4
	v_mov_b32_e32 v11, s1
	s_and_b64 s[4:5], s[0:1], s[8:9]
	v_mov_b32_e32 v10, s0
	s_mul_u64 s[4:5], s[4:5], 24
	s_wait_loadcnt 0x0
	v_add_nc_u64_e32 v[8:9], s[4:5], v[6:7]
	global_store_b64 v[8:9], v[12:13], off
	global_wb scope:SCOPE_SYS
	s_wait_storecnt 0x0
	s_wait_xcnt 0x0
	global_atomic_cmpswap_b64 v[6:7], v1, v[10:13], s[2:3] offset:24 th:TH_ATOMIC_RETURN scope:SCOPE_SYS
	s_wait_loadcnt 0x0
	v_cmp_ne_u64_e32 vcc_lo, v[6:7], v[12:13]
	s_and_b32 exec_lo, exec_lo, vcc_lo
	s_cbranch_execz .LBB11_26
; %bb.24:
	s_mov_b32 s4, 0
.LBB11_25:                              ; =>This Inner Loop Header: Depth=1
	v_dual_mov_b32 v4, s0 :: v_dual_mov_b32 v5, s1
	s_sleep 1
	global_store_b64 v[8:9], v[6:7], off
	global_wb scope:SCOPE_SYS
	s_wait_storecnt 0x0
	s_wait_xcnt 0x0
	global_atomic_cmpswap_b64 v[4:5], v1, v[4:7], s[2:3] offset:24 th:TH_ATOMIC_RETURN scope:SCOPE_SYS
	s_wait_loadcnt 0x0
	v_cmp_eq_u64_e32 vcc_lo, v[4:5], v[6:7]
	v_mov_b64_e32 v[6:7], v[4:5]
	s_or_b32 s4, vcc_lo, s4
	s_delay_alu instid0(SALU_CYCLE_1)
	s_and_not1_b32 exec_lo, exec_lo, s4
	s_cbranch_execnz .LBB11_25
.LBB11_26:
	s_or_b32 exec_lo, exec_lo, s6
	s_get_pc_i64 s[4:5]
	s_add_nc_u64 s[4:5], s[4:5], .str@rel64+4
	s_mov_b64 s[6:7], 0
	s_cmp_lg_u64 s[4:5], 0
	s_cselect_b32 s8, -1, 0
	s_cmp_eq_u64 s[4:5], 0
	s_cbranch_scc1 .LBB11_30
; %bb.27:
	s_get_pc_i64 s[0:1]
	s_add_nc_u64 s[0:1], s[0:1], .str@rel64+3
.LBB11_28:                              ; =>This Inner Loop Header: Depth=1
	s_load_u8 s6, s[0:1], 0x1
	s_wait_xcnt 0x0
	s_add_nc_u64 s[0:1], s[0:1], 1
	s_wait_kmcnt 0x0
	s_cmp_lg_u32 s6, 0
	s_cbranch_scc1 .LBB11_28
; %bb.29:
	s_get_pc_i64 s[6:7]
	s_add_nc_u64 s[6:7], s[6:7], .str@rel64+4
	s_delay_alu instid0(SALU_CYCLE_1) | instskip(NEXT) | instid1(SALU_CYCLE_1)
	s_sub_nc_u64 s[0:1], s[0:1], s[6:7]
	s_add_nc_u64 s[6:7], s[0:1], 1
.LBB11_30:
	s_and_b32 vcc_lo, exec_lo, s8
	s_cbranch_vccz .LBB11_109
; %bb.31:
	v_mov_b64_e32 v[6:7], 0x100000002
	s_wait_loadcnt 0x0
	v_dual_mov_b32 v9, v3 :: v_dual_bitop2_b32 v8, -3, v2 bitop3:0x40
	v_mov_b32_e32 v5, 0
	s_branch .LBB11_33
.LBB11_32:                              ;   in Loop: Header=BB11_33 Depth=1
	s_or_b32 exec_lo, exec_lo, s12
	s_sub_nc_u64 s[6:7], s[6:7], s[8:9]
	s_add_nc_u64 s[4:5], s[4:5], s[8:9]
	s_cmp_lg_u64 s[6:7], 0
	s_cbranch_scc0 .LBB11_108
.LBB11_33:                              ; =>This Loop Header: Depth=1
                                        ;     Child Loop BB11_36 Depth 2
                                        ;     Child Loop BB11_43 Depth 2
	;; [unrolled: 1-line block ×11, first 2 shown]
	s_wait_loadcnt 0x0
	v_min_u64 v[10:11], s[6:7], 56
	v_cmp_gt_u64_e64 s0, s[6:7], 7
	s_and_b32 vcc_lo, exec_lo, s0
	v_readfirstlane_b32 s8, v10
	v_readfirstlane_b32 s9, v11
	s_cbranch_vccnz .LBB11_38
; %bb.34:                               ;   in Loop: Header=BB11_33 Depth=1
	v_mov_b64_e32 v[10:11], 0
	s_cmp_eq_u64 s[6:7], 0
	s_cbranch_scc1 .LBB11_37
; %bb.35:                               ;   in Loop: Header=BB11_33 Depth=1
	s_mov_b64 s[0:1], 0
	s_mov_b64 s[10:11], 0
.LBB11_36:                              ;   Parent Loop BB11_33 Depth=1
                                        ; =>  This Inner Loop Header: Depth=2
	s_wait_xcnt 0x0
	s_add_nc_u64 s[12:13], s[4:5], s[10:11]
	s_add_nc_u64 s[10:11], s[10:11], 1
	global_load_u8 v1, v5, s[12:13]
	s_cmp_lg_u32 s8, s10
	s_wait_loadcnt 0x0
	v_and_b32_e32 v4, 0xffff, v1
	s_delay_alu instid0(VALU_DEP_1) | instskip(SKIP_1) | instid1(VALU_DEP_1)
	v_lshlrev_b64_e32 v[12:13], s0, v[4:5]
	s_add_nc_u64 s[0:1], s[0:1], 8
	v_or_b32_e32 v10, v12, v10
	s_delay_alu instid0(VALU_DEP_2)
	v_or_b32_e32 v11, v13, v11
	s_cbranch_scc1 .LBB11_36
.LBB11_37:                              ;   in Loop: Header=BB11_33 Depth=1
	s_mov_b64 s[10:11], s[4:5]
	s_mov_b32 s14, 0
	s_cbranch_execz .LBB11_39
	s_branch .LBB11_40
.LBB11_38:                              ;   in Loop: Header=BB11_33 Depth=1
	s_add_nc_u64 s[10:11], s[4:5], 8
	s_mov_b32 s14, 0
.LBB11_39:                              ;   in Loop: Header=BB11_33 Depth=1
	global_load_b64 v[10:11], v5, s[4:5]
	s_add_co_i32 s14, s8, -8
.LBB11_40:                              ;   in Loop: Header=BB11_33 Depth=1
	s_delay_alu instid0(SALU_CYCLE_1)
	s_cmp_gt_u32 s14, 7
	s_cbranch_scc1 .LBB11_45
; %bb.41:                               ;   in Loop: Header=BB11_33 Depth=1
	v_mov_b64_e32 v[12:13], 0
	s_cmp_eq_u32 s14, 0
	s_cbranch_scc1 .LBB11_44
; %bb.42:                               ;   in Loop: Header=BB11_33 Depth=1
	s_mov_b64 s[0:1], 0
	s_wait_xcnt 0x0
	s_mov_b64 s[12:13], 0
.LBB11_43:                              ;   Parent Loop BB11_33 Depth=1
                                        ; =>  This Inner Loop Header: Depth=2
	s_wait_xcnt 0x0
	s_add_nc_u64 s[16:17], s[10:11], s[12:13]
	s_add_nc_u64 s[12:13], s[12:13], 1
	global_load_u8 v1, v5, s[16:17]
	s_cmp_lg_u32 s14, s12
	s_wait_loadcnt 0x0
	v_and_b32_e32 v4, 0xffff, v1
	s_delay_alu instid0(VALU_DEP_1) | instskip(SKIP_1) | instid1(VALU_DEP_1)
	v_lshlrev_b64_e32 v[14:15], s0, v[4:5]
	s_add_nc_u64 s[0:1], s[0:1], 8
	v_or_b32_e32 v12, v14, v12
	s_delay_alu instid0(VALU_DEP_2)
	v_or_b32_e32 v13, v15, v13
	s_cbranch_scc1 .LBB11_43
.LBB11_44:                              ;   in Loop: Header=BB11_33 Depth=1
	s_wait_xcnt 0x0
	s_mov_b64 s[0:1], s[10:11]
	s_mov_b32 s15, 0
	s_cbranch_execz .LBB11_46
	s_branch .LBB11_47
.LBB11_45:                              ;   in Loop: Header=BB11_33 Depth=1
	s_add_nc_u64 s[0:1], s[10:11], 8
	s_wait_xcnt 0x0
                                        ; implicit-def: $vgpr12_vgpr13
	s_mov_b32 s15, 0
.LBB11_46:                              ;   in Loop: Header=BB11_33 Depth=1
	global_load_b64 v[12:13], v5, s[10:11]
	s_add_co_i32 s15, s14, -8
.LBB11_47:                              ;   in Loop: Header=BB11_33 Depth=1
	s_delay_alu instid0(SALU_CYCLE_1)
	s_cmp_gt_u32 s15, 7
	s_cbranch_scc1 .LBB11_52
; %bb.48:                               ;   in Loop: Header=BB11_33 Depth=1
	v_mov_b64_e32 v[14:15], 0
	s_cmp_eq_u32 s15, 0
	s_cbranch_scc1 .LBB11_51
; %bb.49:                               ;   in Loop: Header=BB11_33 Depth=1
	s_wait_xcnt 0x0
	s_mov_b64 s[10:11], 0
	s_mov_b64 s[12:13], 0
.LBB11_50:                              ;   Parent Loop BB11_33 Depth=1
                                        ; =>  This Inner Loop Header: Depth=2
	s_wait_xcnt 0x0
	s_add_nc_u64 s[16:17], s[0:1], s[12:13]
	s_add_nc_u64 s[12:13], s[12:13], 1
	global_load_u8 v1, v5, s[16:17]
	s_cmp_lg_u32 s15, s12
	s_wait_loadcnt 0x0
	v_and_b32_e32 v4, 0xffff, v1
	s_delay_alu instid0(VALU_DEP_1) | instskip(SKIP_1) | instid1(VALU_DEP_1)
	v_lshlrev_b64_e32 v[16:17], s10, v[4:5]
	s_add_nc_u64 s[10:11], s[10:11], 8
	v_or_b32_e32 v14, v16, v14
	s_delay_alu instid0(VALU_DEP_2)
	v_or_b32_e32 v15, v17, v15
	s_cbranch_scc1 .LBB11_50
.LBB11_51:                              ;   in Loop: Header=BB11_33 Depth=1
	s_wait_xcnt 0x0
	s_mov_b64 s[10:11], s[0:1]
	s_mov_b32 s14, 0
	s_cbranch_execz .LBB11_53
	s_branch .LBB11_54
.LBB11_52:                              ;   in Loop: Header=BB11_33 Depth=1
	s_wait_xcnt 0x0
	s_add_nc_u64 s[10:11], s[0:1], 8
	s_mov_b32 s14, 0
.LBB11_53:                              ;   in Loop: Header=BB11_33 Depth=1
	global_load_b64 v[14:15], v5, s[0:1]
	s_add_co_i32 s14, s15, -8
.LBB11_54:                              ;   in Loop: Header=BB11_33 Depth=1
	s_delay_alu instid0(SALU_CYCLE_1)
	s_cmp_gt_u32 s14, 7
	s_cbranch_scc1 .LBB11_59
; %bb.55:                               ;   in Loop: Header=BB11_33 Depth=1
	v_mov_b64_e32 v[16:17], 0
	s_cmp_eq_u32 s14, 0
	s_cbranch_scc1 .LBB11_58
; %bb.56:                               ;   in Loop: Header=BB11_33 Depth=1
	s_wait_xcnt 0x0
	s_mov_b64 s[0:1], 0
	s_mov_b64 s[12:13], 0
.LBB11_57:                              ;   Parent Loop BB11_33 Depth=1
                                        ; =>  This Inner Loop Header: Depth=2
	s_wait_xcnt 0x0
	s_add_nc_u64 s[16:17], s[10:11], s[12:13]
	s_add_nc_u64 s[12:13], s[12:13], 1
	global_load_u8 v1, v5, s[16:17]
	s_cmp_lg_u32 s14, s12
	s_wait_loadcnt 0x0
	v_and_b32_e32 v4, 0xffff, v1
	s_delay_alu instid0(VALU_DEP_1) | instskip(SKIP_1) | instid1(VALU_DEP_1)
	v_lshlrev_b64_e32 v[18:19], s0, v[4:5]
	s_add_nc_u64 s[0:1], s[0:1], 8
	v_or_b32_e32 v16, v18, v16
	s_delay_alu instid0(VALU_DEP_2)
	v_or_b32_e32 v17, v19, v17
	s_cbranch_scc1 .LBB11_57
.LBB11_58:                              ;   in Loop: Header=BB11_33 Depth=1
	s_wait_xcnt 0x0
	s_mov_b64 s[0:1], s[10:11]
	s_mov_b32 s15, 0
	s_cbranch_execz .LBB11_60
	s_branch .LBB11_61
.LBB11_59:                              ;   in Loop: Header=BB11_33 Depth=1
	s_wait_xcnt 0x0
	s_add_nc_u64 s[0:1], s[10:11], 8
                                        ; implicit-def: $vgpr16_vgpr17
	s_mov_b32 s15, 0
.LBB11_60:                              ;   in Loop: Header=BB11_33 Depth=1
	global_load_b64 v[16:17], v5, s[10:11]
	s_add_co_i32 s15, s14, -8
.LBB11_61:                              ;   in Loop: Header=BB11_33 Depth=1
	s_delay_alu instid0(SALU_CYCLE_1)
	s_cmp_gt_u32 s15, 7
	s_cbranch_scc1 .LBB11_66
; %bb.62:                               ;   in Loop: Header=BB11_33 Depth=1
	v_mov_b64_e32 v[18:19], 0
	s_cmp_eq_u32 s15, 0
	s_cbranch_scc1 .LBB11_65
; %bb.63:                               ;   in Loop: Header=BB11_33 Depth=1
	s_wait_xcnt 0x0
	s_mov_b64 s[10:11], 0
	s_mov_b64 s[12:13], 0
.LBB11_64:                              ;   Parent Loop BB11_33 Depth=1
                                        ; =>  This Inner Loop Header: Depth=2
	s_wait_xcnt 0x0
	s_add_nc_u64 s[16:17], s[0:1], s[12:13]
	s_add_nc_u64 s[12:13], s[12:13], 1
	global_load_u8 v1, v5, s[16:17]
	s_cmp_lg_u32 s15, s12
	s_wait_loadcnt 0x0
	v_and_b32_e32 v4, 0xffff, v1
	s_delay_alu instid0(VALU_DEP_1) | instskip(SKIP_1) | instid1(VALU_DEP_1)
	v_lshlrev_b64_e32 v[20:21], s10, v[4:5]
	s_add_nc_u64 s[10:11], s[10:11], 8
	v_or_b32_e32 v18, v20, v18
	s_delay_alu instid0(VALU_DEP_2)
	v_or_b32_e32 v19, v21, v19
	s_cbranch_scc1 .LBB11_64
.LBB11_65:                              ;   in Loop: Header=BB11_33 Depth=1
	s_wait_xcnt 0x0
	s_mov_b64 s[10:11], s[0:1]
	s_mov_b32 s14, 0
	s_cbranch_execz .LBB11_67
	s_branch .LBB11_68
.LBB11_66:                              ;   in Loop: Header=BB11_33 Depth=1
	s_wait_xcnt 0x0
	s_add_nc_u64 s[10:11], s[0:1], 8
	s_mov_b32 s14, 0
.LBB11_67:                              ;   in Loop: Header=BB11_33 Depth=1
	global_load_b64 v[18:19], v5, s[0:1]
	s_add_co_i32 s14, s15, -8
.LBB11_68:                              ;   in Loop: Header=BB11_33 Depth=1
	s_delay_alu instid0(SALU_CYCLE_1)
	s_cmp_gt_u32 s14, 7
	s_cbranch_scc1 .LBB11_73
; %bb.69:                               ;   in Loop: Header=BB11_33 Depth=1
	v_mov_b64_e32 v[20:21], 0
	s_cmp_eq_u32 s14, 0
	s_cbranch_scc1 .LBB11_72
; %bb.70:                               ;   in Loop: Header=BB11_33 Depth=1
	s_wait_xcnt 0x0
	s_mov_b64 s[0:1], 0
	s_mov_b64 s[12:13], 0
.LBB11_71:                              ;   Parent Loop BB11_33 Depth=1
                                        ; =>  This Inner Loop Header: Depth=2
	s_wait_xcnt 0x0
	s_add_nc_u64 s[16:17], s[10:11], s[12:13]
	s_add_nc_u64 s[12:13], s[12:13], 1
	global_load_u8 v1, v5, s[16:17]
	s_cmp_lg_u32 s14, s12
	s_wait_loadcnt 0x0
	v_and_b32_e32 v4, 0xffff, v1
	s_delay_alu instid0(VALU_DEP_1) | instskip(SKIP_1) | instid1(VALU_DEP_1)
	v_lshlrev_b64_e32 v[22:23], s0, v[4:5]
	s_add_nc_u64 s[0:1], s[0:1], 8
	v_or_b32_e32 v20, v22, v20
	s_delay_alu instid0(VALU_DEP_2)
	v_or_b32_e32 v21, v23, v21
	s_cbranch_scc1 .LBB11_71
.LBB11_72:                              ;   in Loop: Header=BB11_33 Depth=1
	s_wait_xcnt 0x0
	s_mov_b64 s[0:1], s[10:11]
	s_mov_b32 s15, 0
	s_cbranch_execz .LBB11_74
	s_branch .LBB11_75
.LBB11_73:                              ;   in Loop: Header=BB11_33 Depth=1
	s_wait_xcnt 0x0
	s_add_nc_u64 s[0:1], s[10:11], 8
                                        ; implicit-def: $vgpr20_vgpr21
	s_mov_b32 s15, 0
.LBB11_74:                              ;   in Loop: Header=BB11_33 Depth=1
	global_load_b64 v[20:21], v5, s[10:11]
	s_add_co_i32 s15, s14, -8
.LBB11_75:                              ;   in Loop: Header=BB11_33 Depth=1
	s_delay_alu instid0(SALU_CYCLE_1)
	s_cmp_gt_u32 s15, 7
	s_cbranch_scc1 .LBB11_80
; %bb.76:                               ;   in Loop: Header=BB11_33 Depth=1
	v_mov_b64_e32 v[22:23], 0
	s_cmp_eq_u32 s15, 0
	s_cbranch_scc1 .LBB11_79
; %bb.77:                               ;   in Loop: Header=BB11_33 Depth=1
	s_wait_xcnt 0x0
	s_mov_b64 s[10:11], 0
	s_mov_b64 s[12:13], s[0:1]
.LBB11_78:                              ;   Parent Loop BB11_33 Depth=1
                                        ; =>  This Inner Loop Header: Depth=2
	global_load_u8 v1, v5, s[12:13]
	s_add_co_i32 s15, s15, -1
	s_wait_xcnt 0x0
	s_add_nc_u64 s[12:13], s[12:13], 1
	s_cmp_lg_u32 s15, 0
	s_wait_loadcnt 0x0
	v_and_b32_e32 v4, 0xffff, v1
	s_delay_alu instid0(VALU_DEP_1) | instskip(SKIP_1) | instid1(VALU_DEP_1)
	v_lshlrev_b64_e32 v[24:25], s10, v[4:5]
	s_add_nc_u64 s[10:11], s[10:11], 8
	v_or_b32_e32 v22, v24, v22
	s_delay_alu instid0(VALU_DEP_2)
	v_or_b32_e32 v23, v25, v23
	s_cbranch_scc1 .LBB11_78
.LBB11_79:                              ;   in Loop: Header=BB11_33 Depth=1
	s_wait_xcnt 0x0
	s_cbranch_execz .LBB11_81
	s_branch .LBB11_82
.LBB11_80:                              ;   in Loop: Header=BB11_33 Depth=1
	s_wait_xcnt 0x0
.LBB11_81:                              ;   in Loop: Header=BB11_33 Depth=1
	global_load_b64 v[22:23], v5, s[0:1]
.LBB11_82:                              ;   in Loop: Header=BB11_33 Depth=1
	s_wait_xcnt 0x0
	v_readfirstlane_b32 s0, v32
	v_mov_b64_e32 v[28:29], 0
	s_delay_alu instid0(VALU_DEP_2)
	v_cmp_eq_u32_e64 s0, s0, v32
	s_and_saveexec_b32 s1, s0
	s_cbranch_execz .LBB11_88
; %bb.83:                               ;   in Loop: Header=BB11_33 Depth=1
	global_load_b64 v[26:27], v5, s[2:3] offset:24 scope:SCOPE_SYS
	s_wait_loadcnt 0x0
	global_inv scope:SCOPE_SYS
	s_clause 0x1
	global_load_b64 v[24:25], v5, s[2:3] offset:40
	global_load_b64 v[28:29], v5, s[2:3]
	s_mov_b32 s10, exec_lo
	s_wait_loadcnt 0x1
	v_and_b32_e32 v24, v24, v26
	v_and_b32_e32 v25, v25, v27
	s_delay_alu instid0(VALU_DEP_1) | instskip(SKIP_1) | instid1(VALU_DEP_1)
	v_mul_u64_e32 v[24:25], 24, v[24:25]
	s_wait_loadcnt 0x0
	v_add_nc_u64_e32 v[24:25], v[28:29], v[24:25]
	global_load_b64 v[24:25], v[24:25], off scope:SCOPE_SYS
	s_wait_xcnt 0x0
	s_wait_loadcnt 0x0
	global_atomic_cmpswap_b64 v[28:29], v5, v[24:27], s[2:3] offset:24 th:TH_ATOMIC_RETURN scope:SCOPE_SYS
	s_wait_loadcnt 0x0
	global_inv scope:SCOPE_SYS
	s_wait_xcnt 0x0
	v_cmpx_ne_u64_e64 v[28:29], v[26:27]
	s_cbranch_execz .LBB11_87
; %bb.84:                               ;   in Loop: Header=BB11_33 Depth=1
	s_mov_b32 s11, 0
.LBB11_85:                              ;   Parent Loop BB11_33 Depth=1
                                        ; =>  This Inner Loop Header: Depth=2
	s_sleep 1
	s_clause 0x1
	global_load_b64 v[24:25], v5, s[2:3] offset:40
	global_load_b64 v[30:31], v5, s[2:3]
	v_mov_b64_e32 v[26:27], v[28:29]
	s_wait_loadcnt 0x1
	s_delay_alu instid0(VALU_DEP_1) | instskip(SKIP_1) | instid1(VALU_DEP_1)
	v_and_b32_e32 v1, v24, v26
	s_wait_loadcnt 0x0
	v_mad_nc_u64_u32 v[28:29], v1, 24, v[30:31]
	s_delay_alu instid0(VALU_DEP_3) | instskip(NEXT) | instid1(VALU_DEP_1)
	v_and_b32_e32 v1, v25, v27
	v_mad_u32 v29, v1, 24, v29
	global_load_b64 v[24:25], v[28:29], off scope:SCOPE_SYS
	s_wait_xcnt 0x0
	s_wait_loadcnt 0x0
	global_atomic_cmpswap_b64 v[28:29], v5, v[24:27], s[2:3] offset:24 th:TH_ATOMIC_RETURN scope:SCOPE_SYS
	s_wait_loadcnt 0x0
	global_inv scope:SCOPE_SYS
	v_cmp_eq_u64_e32 vcc_lo, v[28:29], v[26:27]
	s_or_b32 s11, vcc_lo, s11
	s_wait_xcnt 0x0
	s_and_not1_b32 exec_lo, exec_lo, s11
	s_cbranch_execnz .LBB11_85
; %bb.86:                               ;   in Loop: Header=BB11_33 Depth=1
	s_or_b32 exec_lo, exec_lo, s11
.LBB11_87:                              ;   in Loop: Header=BB11_33 Depth=1
	s_delay_alu instid0(SALU_CYCLE_1)
	s_or_b32 exec_lo, exec_lo, s10
.LBB11_88:                              ;   in Loop: Header=BB11_33 Depth=1
	s_delay_alu instid0(SALU_CYCLE_1)
	s_or_b32 exec_lo, exec_lo, s1
	s_clause 0x1
	global_load_b64 v[30:31], v5, s[2:3] offset:40
	global_load_b128 v[24:27], v5, s[2:3]
	v_readfirstlane_b32 s10, v28
	v_readfirstlane_b32 s11, v29
	s_mov_b32 s1, exec_lo
	s_wait_loadcnt 0x1
	v_and_b32_e32 v30, s10, v30
	v_and_b32_e32 v31, s11, v31
	s_delay_alu instid0(VALU_DEP_1) | instskip(SKIP_1) | instid1(VALU_DEP_1)
	v_mul_u64_e32 v[28:29], 24, v[30:31]
	s_wait_loadcnt 0x0
	v_add_nc_u64_e32 v[28:29], v[24:25], v[28:29]
	s_wait_xcnt 0x0
	s_and_saveexec_b32 s12, s0
	s_cbranch_execz .LBB11_90
; %bb.89:                               ;   in Loop: Header=BB11_33 Depth=1
	v_mov_b32_e32 v4, s1
	global_store_b128 v[28:29], v[4:7], off offset:8
.LBB11_90:                              ;   in Loop: Header=BB11_33 Depth=1
	s_wait_xcnt 0x0
	s_or_b32 exec_lo, exec_lo, s12
	v_cmp_gt_u64_e64 s1, s[6:7], 56
	v_lshlrev_b64_e32 v[30:31], 12, v[30:31]
	v_and_b32_e32 v1, 0xffffff1f, v8
	s_and_b32 s1, s1, exec_lo
	s_delay_alu instid0(VALU_DEP_2) | instskip(SKIP_4) | instid1(VALU_DEP_2)
	v_add_nc_u64_e32 v[26:27], v[26:27], v[30:31]
	s_cselect_b32 s1, 0, 2
	s_lshl_b32 s12, s8, 2
	v_or_b32_e32 v1, s1, v1
	s_add_co_i32 s1, s12, 28
	v_readfirstlane_b32 s12, v26
	s_delay_alu instid0(VALU_DEP_3) | instskip(NEXT) | instid1(VALU_DEP_3)
	v_readfirstlane_b32 s13, v27
	v_and_or_b32 v8, 0x1e0, s1, v1
	s_clause 0x3
	global_store_b128 v0, v[8:11], s[12:13]
	global_store_b128 v0, v[12:15], s[12:13] offset:16
	global_store_b128 v0, v[16:19], s[12:13] offset:32
	;; [unrolled: 1-line block ×3, first 2 shown]
	s_wait_xcnt 0x0
	s_and_saveexec_b32 s1, s0
	s_cbranch_execz .LBB11_98
; %bb.91:                               ;   in Loop: Header=BB11_33 Depth=1
	s_clause 0x1
	global_load_b64 v[16:17], v5, s[2:3] offset:32 scope:SCOPE_SYS
	global_load_b64 v[8:9], v5, s[2:3] offset:40
	s_mov_b32 s12, exec_lo
	v_dual_mov_b32 v14, s10 :: v_dual_mov_b32 v15, s11
	s_wait_loadcnt 0x0
	v_and_b32_e32 v9, s11, v9
	v_and_b32_e32 v8, s10, v8
	s_delay_alu instid0(VALU_DEP_1) | instskip(NEXT) | instid1(VALU_DEP_1)
	v_mul_u64_e32 v[8:9], 24, v[8:9]
	v_add_nc_u64_e32 v[12:13], v[24:25], v[8:9]
	global_store_b64 v[12:13], v[16:17], off
	global_wb scope:SCOPE_SYS
	s_wait_storecnt 0x0
	s_wait_xcnt 0x0
	global_atomic_cmpswap_b64 v[10:11], v5, v[14:17], s[2:3] offset:32 th:TH_ATOMIC_RETURN scope:SCOPE_SYS
	s_wait_loadcnt 0x0
	v_cmpx_ne_u64_e64 v[10:11], v[16:17]
	s_cbranch_execz .LBB11_94
; %bb.92:                               ;   in Loop: Header=BB11_33 Depth=1
	s_mov_b32 s13, 0
.LBB11_93:                              ;   Parent Loop BB11_33 Depth=1
                                        ; =>  This Inner Loop Header: Depth=2
	v_dual_mov_b32 v8, s10 :: v_dual_mov_b32 v9, s11
	s_sleep 1
	global_store_b64 v[12:13], v[10:11], off
	global_wb scope:SCOPE_SYS
	s_wait_storecnt 0x0
	s_wait_xcnt 0x0
	global_atomic_cmpswap_b64 v[8:9], v5, v[8:11], s[2:3] offset:32 th:TH_ATOMIC_RETURN scope:SCOPE_SYS
	s_wait_loadcnt 0x0
	v_cmp_eq_u64_e32 vcc_lo, v[8:9], v[10:11]
	v_mov_b64_e32 v[10:11], v[8:9]
	s_or_b32 s13, vcc_lo, s13
	s_delay_alu instid0(SALU_CYCLE_1)
	s_and_not1_b32 exec_lo, exec_lo, s13
	s_cbranch_execnz .LBB11_93
.LBB11_94:                              ;   in Loop: Header=BB11_33 Depth=1
	s_or_b32 exec_lo, exec_lo, s12
	global_load_b64 v[8:9], v5, s[2:3] offset:16
	s_mov_b32 s13, exec_lo
	s_mov_b32 s12, exec_lo
	v_mbcnt_lo_u32_b32 v1, s13, 0
	s_wait_xcnt 0x0
	s_delay_alu instid0(VALU_DEP_1)
	v_cmpx_eq_u32_e32 0, v1
	s_cbranch_execz .LBB11_96
; %bb.95:                               ;   in Loop: Header=BB11_33 Depth=1
	s_bcnt1_i32_b32 s13, s13
	s_delay_alu instid0(SALU_CYCLE_1)
	v_mov_b32_e32 v4, s13
	global_wb scope:SCOPE_SYS
	s_wait_loadcnt 0x0
	s_wait_storecnt 0x0
	global_atomic_add_u64 v[8:9], v[4:5], off offset:8 scope:SCOPE_SYS
.LBB11_96:                              ;   in Loop: Header=BB11_33 Depth=1
	s_wait_xcnt 0x0
	s_or_b32 exec_lo, exec_lo, s12
	s_wait_loadcnt 0x0
	global_load_b64 v[10:11], v[8:9], off offset:16
	s_wait_loadcnt 0x0
	v_cmp_eq_u64_e32 vcc_lo, 0, v[10:11]
	s_cbranch_vccnz .LBB11_98
; %bb.97:                               ;   in Loop: Header=BB11_33 Depth=1
	global_load_b32 v4, v[8:9], off offset:24
	s_wait_loadcnt 0x0
	v_readfirstlane_b32 s12, v4
	global_wb scope:SCOPE_SYS
	s_wait_storecnt 0x0
	s_wait_xcnt 0x0
	global_store_b64 v[10:11], v[4:5], off scope:SCOPE_SYS
	s_and_b32 m0, s12, 0xffffff
	s_sendmsg sendmsg(MSG_INTERRUPT)
.LBB11_98:                              ;   in Loop: Header=BB11_33 Depth=1
	s_wait_xcnt 0x0
	s_or_b32 exec_lo, exec_lo, s1
	v_mov_b32_e32 v1, v5
	s_delay_alu instid0(VALU_DEP_1)
	v_add_nc_u64_e32 v[8:9], v[26:27], v[0:1]
	s_branch .LBB11_102
.LBB11_99:                              ;   in Loop: Header=BB11_102 Depth=2
	s_wait_xcnt 0x0
	s_or_b32 exec_lo, exec_lo, s1
	s_delay_alu instid0(VALU_DEP_1)
	v_readfirstlane_b32 s1, v1
	s_cmp_eq_u32 s1, 0
	s_cbranch_scc1 .LBB11_101
; %bb.100:                              ;   in Loop: Header=BB11_102 Depth=2
	s_sleep 1
	s_cbranch_execnz .LBB11_102
	s_branch .LBB11_104
.LBB11_101:                             ;   in Loop: Header=BB11_33 Depth=1
	s_branch .LBB11_104
.LBB11_102:                             ;   Parent Loop BB11_33 Depth=1
                                        ; =>  This Inner Loop Header: Depth=2
	v_mov_b32_e32 v1, 1
	s_and_saveexec_b32 s1, s0
	s_cbranch_execz .LBB11_99
; %bb.103:                              ;   in Loop: Header=BB11_102 Depth=2
	global_load_b32 v1, v[28:29], off offset:20 scope:SCOPE_SYS
	s_wait_loadcnt 0x0
	global_inv scope:SCOPE_SYS
	v_and_b32_e32 v1, 1, v1
	s_branch .LBB11_99
.LBB11_104:                             ;   in Loop: Header=BB11_33 Depth=1
	global_load_b128 v[8:11], v[8:9], off
	s_wait_xcnt 0x0
	s_and_saveexec_b32 s12, s0
	s_cbranch_execz .LBB11_32
; %bb.105:                              ;   in Loop: Header=BB11_33 Depth=1
	s_wait_loadcnt 0x0
	s_clause 0x2
	global_load_b64 v[10:11], v5, s[2:3] offset:40
	global_load_b64 v[18:19], v5, s[2:3] offset:24 scope:SCOPE_SYS
	global_load_b64 v[12:13], v5, s[2:3]
	s_wait_loadcnt 0x2
	v_readfirstlane_b32 s14, v10
	v_readfirstlane_b32 s15, v11
	s_add_nc_u64 s[0:1], s[14:15], 1
	s_delay_alu instid0(SALU_CYCLE_1) | instskip(NEXT) | instid1(SALU_CYCLE_1)
	s_add_nc_u64 s[10:11], s[0:1], s[10:11]
	s_cmp_eq_u64 s[10:11], 0
	s_cselect_b32 s1, s1, s11
	s_cselect_b32 s0, s0, s10
	s_delay_alu instid0(SALU_CYCLE_1) | instskip(SKIP_1) | instid1(SALU_CYCLE_1)
	v_dual_mov_b32 v17, s1 :: v_dual_mov_b32 v16, s0
	s_and_b64 s[10:11], s[0:1], s[14:15]
	s_mul_u64 s[10:11], s[10:11], 24
	s_wait_loadcnt 0x0
	v_add_nc_u64_e32 v[14:15], s[10:11], v[12:13]
	global_store_b64 v[14:15], v[18:19], off
	global_wb scope:SCOPE_SYS
	s_wait_storecnt 0x0
	s_wait_xcnt 0x0
	global_atomic_cmpswap_b64 v[12:13], v5, v[16:19], s[2:3] offset:24 th:TH_ATOMIC_RETURN scope:SCOPE_SYS
	s_wait_loadcnt 0x0
	v_cmp_ne_u64_e32 vcc_lo, v[12:13], v[18:19]
	s_and_b32 exec_lo, exec_lo, vcc_lo
	s_cbranch_execz .LBB11_32
; %bb.106:                              ;   in Loop: Header=BB11_33 Depth=1
	s_mov_b32 s10, 0
.LBB11_107:                             ;   Parent Loop BB11_33 Depth=1
                                        ; =>  This Inner Loop Header: Depth=2
	v_dual_mov_b32 v10, s0 :: v_dual_mov_b32 v11, s1
	s_sleep 1
	global_store_b64 v[14:15], v[12:13], off
	global_wb scope:SCOPE_SYS
	s_wait_storecnt 0x0
	s_wait_xcnt 0x0
	global_atomic_cmpswap_b64 v[10:11], v5, v[10:13], s[2:3] offset:24 th:TH_ATOMIC_RETURN scope:SCOPE_SYS
	s_wait_loadcnt 0x0
	v_cmp_eq_u64_e32 vcc_lo, v[10:11], v[12:13]
	v_mov_b64_e32 v[12:13], v[10:11]
	s_or_b32 s10, vcc_lo, s10
	s_delay_alu instid0(SALU_CYCLE_1)
	s_and_not1_b32 exec_lo, exec_lo, s10
	s_cbranch_execnz .LBB11_107
	s_branch .LBB11_32
.LBB11_108:
	s_branch .LBB11_136
.LBB11_109:
	s_cbranch_execz .LBB11_136
; %bb.110:
	v_readfirstlane_b32 s0, v32
	s_wait_loadcnt 0x0
	v_mov_b64_e32 v[10:11], 0
	s_delay_alu instid0(VALU_DEP_2)
	v_cmp_eq_u32_e64 s0, s0, v32
	s_and_saveexec_b32 s1, s0
	s_cbranch_execz .LBB11_116
; %bb.111:
	v_mov_b32_e32 v1, 0
	s_mov_b32 s4, exec_lo
	global_load_b64 v[6:7], v1, s[2:3] offset:24 scope:SCOPE_SYS
	s_wait_loadcnt 0x0
	global_inv scope:SCOPE_SYS
	s_clause 0x1
	global_load_b64 v[4:5], v1, s[2:3] offset:40
	global_load_b64 v[8:9], v1, s[2:3]
	s_wait_loadcnt 0x1
	v_and_b32_e32 v4, v4, v6
	v_and_b32_e32 v5, v5, v7
	s_delay_alu instid0(VALU_DEP_1) | instskip(SKIP_1) | instid1(VALU_DEP_1)
	v_mul_u64_e32 v[4:5], 24, v[4:5]
	s_wait_loadcnt 0x0
	v_add_nc_u64_e32 v[4:5], v[8:9], v[4:5]
	global_load_b64 v[4:5], v[4:5], off scope:SCOPE_SYS
	s_wait_xcnt 0x0
	s_wait_loadcnt 0x0
	global_atomic_cmpswap_b64 v[10:11], v1, v[4:7], s[2:3] offset:24 th:TH_ATOMIC_RETURN scope:SCOPE_SYS
	s_wait_loadcnt 0x0
	global_inv scope:SCOPE_SYS
	s_wait_xcnt 0x0
	v_cmpx_ne_u64_e64 v[10:11], v[6:7]
	s_cbranch_execz .LBB11_115
; %bb.112:
	s_mov_b32 s5, 0
.LBB11_113:                             ; =>This Inner Loop Header: Depth=1
	s_sleep 1
	s_clause 0x1
	global_load_b64 v[4:5], v1, s[2:3] offset:40
	global_load_b64 v[8:9], v1, s[2:3]
	v_mov_b64_e32 v[6:7], v[10:11]
	s_wait_loadcnt 0x1
	s_delay_alu instid0(VALU_DEP_1) | instskip(SKIP_1) | instid1(VALU_DEP_1)
	v_and_b32_e32 v4, v4, v6
	s_wait_loadcnt 0x0
	v_mad_nc_u64_u32 v[8:9], v4, 24, v[8:9]
	s_delay_alu instid0(VALU_DEP_3) | instskip(NEXT) | instid1(VALU_DEP_1)
	v_and_b32_e32 v4, v5, v7
	v_mad_u32 v9, v4, 24, v9
	global_load_b64 v[4:5], v[8:9], off scope:SCOPE_SYS
	s_wait_xcnt 0x0
	s_wait_loadcnt 0x0
	global_atomic_cmpswap_b64 v[10:11], v1, v[4:7], s[2:3] offset:24 th:TH_ATOMIC_RETURN scope:SCOPE_SYS
	s_wait_loadcnt 0x0
	global_inv scope:SCOPE_SYS
	v_cmp_eq_u64_e32 vcc_lo, v[10:11], v[6:7]
	s_or_b32 s5, vcc_lo, s5
	s_wait_xcnt 0x0
	s_and_not1_b32 exec_lo, exec_lo, s5
	s_cbranch_execnz .LBB11_113
; %bb.114:
	s_or_b32 exec_lo, exec_lo, s5
.LBB11_115:
	s_delay_alu instid0(SALU_CYCLE_1)
	s_or_b32 exec_lo, exec_lo, s4
.LBB11_116:
	s_delay_alu instid0(SALU_CYCLE_1)
	s_or_b32 exec_lo, exec_lo, s1
	v_readfirstlane_b32 s4, v10
	v_mov_b32_e32 v4, 0
	v_readfirstlane_b32 s5, v11
	s_mov_b32 s1, exec_lo
	s_clause 0x1
	global_load_b64 v[12:13], v4, s[2:3] offset:40
	global_load_b128 v[6:9], v4, s[2:3]
	s_wait_loadcnt 0x1
	v_and_b32_e32 v12, s4, v12
	v_and_b32_e32 v13, s5, v13
	s_delay_alu instid0(VALU_DEP_1) | instskip(SKIP_1) | instid1(VALU_DEP_1)
	v_mul_u64_e32 v[10:11], 24, v[12:13]
	s_wait_loadcnt 0x0
	v_add_nc_u64_e32 v[10:11], v[6:7], v[10:11]
	s_wait_xcnt 0x0
	s_and_saveexec_b32 s6, s0
	s_cbranch_execz .LBB11_118
; %bb.117:
	v_mov_b64_e32 v[16:17], 0x100000002
	v_dual_mov_b32 v14, s1 :: v_dual_mov_b32 v15, v4
	global_store_b128 v[10:11], v[14:17], off offset:8
.LBB11_118:
	s_wait_xcnt 0x0
	s_or_b32 exec_lo, exec_lo, s6
	v_lshlrev_b64_e32 v[12:13], 12, v[12:13]
	s_mov_b32 s8, 0
	v_and_or_b32 v2, 0xffffff1d, v2, 34
	s_mov_b32 s10, s8
	s_mov_b32 s11, s8
	;; [unrolled: 1-line block ×3, first 2 shown]
	v_mov_b32_e32 v5, v4
	v_add_nc_u64_e32 v[8:9], v[8:9], v[12:13]
	v_mov_b64_e32 v[14:15], s[10:11]
	v_mov_b64_e32 v[12:13], s[8:9]
	s_delay_alu instid0(VALU_DEP_3) | instskip(NEXT) | instid1(VALU_DEP_4)
	v_readfirstlane_b32 s6, v8
	v_readfirstlane_b32 s7, v9
	s_clause 0x3
	global_store_b128 v0, v[2:5], s[6:7]
	global_store_b128 v0, v[12:15], s[6:7] offset:16
	global_store_b128 v0, v[12:15], s[6:7] offset:32
	;; [unrolled: 1-line block ×3, first 2 shown]
	s_wait_xcnt 0x0
	s_and_saveexec_b32 s1, s0
	s_cbranch_execz .LBB11_126
; %bb.119:
	v_dual_mov_b32 v8, 0 :: v_dual_mov_b32 v13, s5
	s_mov_b32 s6, exec_lo
	s_clause 0x1
	global_load_b64 v[14:15], v8, s[2:3] offset:32 scope:SCOPE_SYS
	global_load_b64 v[0:1], v8, s[2:3] offset:40
	s_wait_loadcnt 0x0
	v_dual_mov_b32 v12, s4 :: v_dual_bitop2_b32 v1, s5, v1 bitop3:0x40
	v_and_b32_e32 v0, s4, v0
	s_delay_alu instid0(VALU_DEP_1) | instskip(NEXT) | instid1(VALU_DEP_1)
	v_mul_u64_e32 v[0:1], 24, v[0:1]
	v_add_nc_u64_e32 v[4:5], v[6:7], v[0:1]
	global_store_b64 v[4:5], v[14:15], off
	global_wb scope:SCOPE_SYS
	s_wait_storecnt 0x0
	s_wait_xcnt 0x0
	global_atomic_cmpswap_b64 v[2:3], v8, v[12:15], s[2:3] offset:32 th:TH_ATOMIC_RETURN scope:SCOPE_SYS
	s_wait_loadcnt 0x0
	v_cmpx_ne_u64_e64 v[2:3], v[14:15]
	s_cbranch_execz .LBB11_122
; %bb.120:
	s_mov_b32 s7, 0
.LBB11_121:                             ; =>This Inner Loop Header: Depth=1
	v_dual_mov_b32 v0, s4 :: v_dual_mov_b32 v1, s5
	s_sleep 1
	global_store_b64 v[4:5], v[2:3], off
	global_wb scope:SCOPE_SYS
	s_wait_storecnt 0x0
	s_wait_xcnt 0x0
	global_atomic_cmpswap_b64 v[0:1], v8, v[0:3], s[2:3] offset:32 th:TH_ATOMIC_RETURN scope:SCOPE_SYS
	s_wait_loadcnt 0x0
	v_cmp_eq_u64_e32 vcc_lo, v[0:1], v[2:3]
	v_mov_b64_e32 v[2:3], v[0:1]
	s_or_b32 s7, vcc_lo, s7
	s_delay_alu instid0(SALU_CYCLE_1)
	s_and_not1_b32 exec_lo, exec_lo, s7
	s_cbranch_execnz .LBB11_121
.LBB11_122:
	s_or_b32 exec_lo, exec_lo, s6
	v_mov_b32_e32 v3, 0
	s_mov_b32 s7, exec_lo
	s_mov_b32 s6, exec_lo
	v_mbcnt_lo_u32_b32 v2, s7, 0
	global_load_b64 v[0:1], v3, s[2:3] offset:16
	s_wait_xcnt 0x0
	v_cmpx_eq_u32_e32 0, v2
	s_cbranch_execz .LBB11_124
; %bb.123:
	s_bcnt1_i32_b32 s7, s7
	s_delay_alu instid0(SALU_CYCLE_1)
	v_mov_b32_e32 v2, s7
	global_wb scope:SCOPE_SYS
	s_wait_loadcnt 0x0
	s_wait_storecnt 0x0
	global_atomic_add_u64 v[0:1], v[2:3], off offset:8 scope:SCOPE_SYS
.LBB11_124:
	s_wait_xcnt 0x0
	s_or_b32 exec_lo, exec_lo, s6
	s_wait_loadcnt 0x0
	global_load_b64 v[2:3], v[0:1], off offset:16
	s_wait_loadcnt 0x0
	v_cmp_eq_u64_e32 vcc_lo, 0, v[2:3]
	s_cbranch_vccnz .LBB11_126
; %bb.125:
	global_load_b32 v0, v[0:1], off offset:24
	s_wait_xcnt 0x0
	v_mov_b32_e32 v1, 0
	s_wait_loadcnt 0x0
	v_readfirstlane_b32 s6, v0
	global_wb scope:SCOPE_SYS
	s_wait_storecnt 0x0
	global_store_b64 v[2:3], v[0:1], off scope:SCOPE_SYS
	s_and_b32 m0, s6, 0xffffff
	s_sendmsg sendmsg(MSG_INTERRUPT)
.LBB11_126:
	s_wait_xcnt 0x0
	s_or_b32 exec_lo, exec_lo, s1
	s_branch .LBB11_130
.LBB11_127:                             ;   in Loop: Header=BB11_130 Depth=1
	s_wait_xcnt 0x0
	s_or_b32 exec_lo, exec_lo, s1
	s_delay_alu instid0(VALU_DEP_1)
	v_readfirstlane_b32 s1, v0
	s_cmp_eq_u32 s1, 0
	s_cbranch_scc1 .LBB11_129
; %bb.128:                              ;   in Loop: Header=BB11_130 Depth=1
	s_sleep 1
	s_cbranch_execnz .LBB11_130
	s_branch .LBB11_132
.LBB11_129:
	s_branch .LBB11_132
.LBB11_130:                             ; =>This Inner Loop Header: Depth=1
	v_mov_b32_e32 v0, 1
	s_and_saveexec_b32 s1, s0
	s_cbranch_execz .LBB11_127
; %bb.131:                              ;   in Loop: Header=BB11_130 Depth=1
	global_load_b32 v0, v[10:11], off offset:20 scope:SCOPE_SYS
	s_wait_loadcnt 0x0
	global_inv scope:SCOPE_SYS
	v_and_b32_e32 v0, 1, v0
	s_branch .LBB11_127
.LBB11_132:
	s_and_saveexec_b32 s1, s0
	s_cbranch_execz .LBB11_136
; %bb.133:
	v_mov_b32_e32 v6, 0
	s_clause 0x2
	global_load_b64 v[0:1], v6, s[2:3] offset:40
	global_load_b64 v[10:11], v6, s[2:3] offset:24 scope:SCOPE_SYS
	global_load_b64 v[2:3], v6, s[2:3]
	s_wait_loadcnt 0x2
	v_readfirstlane_b32 s6, v0
	v_readfirstlane_b32 s7, v1
	s_add_nc_u64 s[0:1], s[6:7], 1
	s_delay_alu instid0(SALU_CYCLE_1) | instskip(NEXT) | instid1(SALU_CYCLE_1)
	s_add_nc_u64 s[4:5], s[0:1], s[4:5]
	s_cmp_eq_u64 s[4:5], 0
	s_cselect_b32 s1, s1, s5
	s_cselect_b32 s0, s0, s4
	v_mov_b32_e32 v9, s1
	s_and_b64 s[4:5], s[0:1], s[6:7]
	v_mov_b32_e32 v8, s0
	s_mul_u64 s[4:5], s[4:5], 24
	s_wait_loadcnt 0x0
	v_add_nc_u64_e32 v[4:5], s[4:5], v[2:3]
	global_store_b64 v[4:5], v[10:11], off
	global_wb scope:SCOPE_SYS
	s_wait_storecnt 0x0
	s_wait_xcnt 0x0
	global_atomic_cmpswap_b64 v[2:3], v6, v[8:11], s[2:3] offset:24 th:TH_ATOMIC_RETURN scope:SCOPE_SYS
	s_wait_loadcnt 0x0
	v_cmp_ne_u64_e32 vcc_lo, v[2:3], v[10:11]
	s_and_b32 exec_lo, exec_lo, vcc_lo
	s_cbranch_execz .LBB11_136
; %bb.134:
	s_mov_b32 s4, 0
.LBB11_135:                             ; =>This Inner Loop Header: Depth=1
	v_dual_mov_b32 v0, s0 :: v_dual_mov_b32 v1, s1
	s_sleep 1
	global_store_b64 v[4:5], v[2:3], off
	global_wb scope:SCOPE_SYS
	s_wait_storecnt 0x0
	s_wait_xcnt 0x0
	global_atomic_cmpswap_b64 v[0:1], v6, v[0:3], s[2:3] offset:24 th:TH_ATOMIC_RETURN scope:SCOPE_SYS
	s_wait_loadcnt 0x0
	v_cmp_eq_u64_e32 vcc_lo, v[0:1], v[2:3]
	v_mov_b64_e32 v[2:3], v[0:1]
	s_or_b32 s4, vcc_lo, s4
	s_delay_alu instid0(SALU_CYCLE_1)
	s_and_not1_b32 exec_lo, exec_lo, s4
	s_cbranch_execnz .LBB11_135
.LBB11_136:
	s_endpgm
	.section	.rodata,"a",@progbits
	.p2align	6, 0x0
	.amdhsa_kernel _ZN2at6native30tinygemm_m16n8k16_chunk_kernelINS0_10ALayout_RMILNS0_14KReductionTypeE0EEENS0_15BLayout_TC_int4ILi8ELi256EEES4_Li8ELi8EEEvPKvS8_S8_Pviiiiii
		.amdhsa_group_segment_fixed_size 0
		.amdhsa_private_segment_fixed_size 0
		.amdhsa_kernarg_size 312
		.amdhsa_user_sgpr_count 2
		.amdhsa_user_sgpr_dispatch_ptr 0
		.amdhsa_user_sgpr_queue_ptr 0
		.amdhsa_user_sgpr_kernarg_segment_ptr 1
		.amdhsa_user_sgpr_dispatch_id 0
		.amdhsa_user_sgpr_kernarg_preload_length 0
		.amdhsa_user_sgpr_kernarg_preload_offset 0
		.amdhsa_user_sgpr_private_segment_size 0
		.amdhsa_wavefront_size32 1
		.amdhsa_uses_dynamic_stack 0
		.amdhsa_enable_private_segment 0
		.amdhsa_system_sgpr_workgroup_id_x 1
		.amdhsa_system_sgpr_workgroup_id_y 0
		.amdhsa_system_sgpr_workgroup_id_z 0
		.amdhsa_system_sgpr_workgroup_info 0
		.amdhsa_system_vgpr_workitem_id 0
		.amdhsa_next_free_vgpr 33
		.amdhsa_next_free_sgpr 18
		.amdhsa_named_barrier_count 0
		.amdhsa_reserve_vcc 1
		.amdhsa_float_round_mode_32 0
		.amdhsa_float_round_mode_16_64 0
		.amdhsa_float_denorm_mode_32 3
		.amdhsa_float_denorm_mode_16_64 3
		.amdhsa_fp16_overflow 0
		.amdhsa_memory_ordered 1
		.amdhsa_forward_progress 1
		.amdhsa_inst_pref_size 43
		.amdhsa_round_robin_scheduling 0
		.amdhsa_exception_fp_ieee_invalid_op 0
		.amdhsa_exception_fp_denorm_src 0
		.amdhsa_exception_fp_ieee_div_zero 0
		.amdhsa_exception_fp_ieee_overflow 0
		.amdhsa_exception_fp_ieee_underflow 0
		.amdhsa_exception_fp_ieee_inexact 0
		.amdhsa_exception_int_div_zero 0
	.end_amdhsa_kernel
	.section	.text._ZN2at6native30tinygemm_m16n8k16_chunk_kernelINS0_10ALayout_RMILNS0_14KReductionTypeE0EEENS0_15BLayout_TC_int4ILi8ELi256EEES4_Li8ELi8EEEvPKvS8_S8_Pviiiiii,"axG",@progbits,_ZN2at6native30tinygemm_m16n8k16_chunk_kernelINS0_10ALayout_RMILNS0_14KReductionTypeE0EEENS0_15BLayout_TC_int4ILi8ELi256EEES4_Li8ELi8EEEvPKvS8_S8_Pviiiiii,comdat
.Lfunc_end11:
	.size	_ZN2at6native30tinygemm_m16n8k16_chunk_kernelINS0_10ALayout_RMILNS0_14KReductionTypeE0EEENS0_15BLayout_TC_int4ILi8ELi256EEES4_Li8ELi8EEEvPKvS8_S8_Pviiiiii, .Lfunc_end11-_ZN2at6native30tinygemm_m16n8k16_chunk_kernelINS0_10ALayout_RMILNS0_14KReductionTypeE0EEENS0_15BLayout_TC_int4ILi8ELi256EEES4_Li8ELi8EEEvPKvS8_S8_Pviiiiii
                                        ; -- End function
	.set _ZN2at6native30tinygemm_m16n8k16_chunk_kernelINS0_10ALayout_RMILNS0_14KReductionTypeE0EEENS0_15BLayout_TC_int4ILi8ELi256EEES4_Li8ELi8EEEvPKvS8_S8_Pviiiiii.num_vgpr, 33
	.set _ZN2at6native30tinygemm_m16n8k16_chunk_kernelINS0_10ALayout_RMILNS0_14KReductionTypeE0EEENS0_15BLayout_TC_int4ILi8ELi256EEES4_Li8ELi8EEEvPKvS8_S8_Pviiiiii.num_agpr, 0
	.set _ZN2at6native30tinygemm_m16n8k16_chunk_kernelINS0_10ALayout_RMILNS0_14KReductionTypeE0EEENS0_15BLayout_TC_int4ILi8ELi256EEES4_Li8ELi8EEEvPKvS8_S8_Pviiiiii.numbered_sgpr, 18
	.set _ZN2at6native30tinygemm_m16n8k16_chunk_kernelINS0_10ALayout_RMILNS0_14KReductionTypeE0EEENS0_15BLayout_TC_int4ILi8ELi256EEES4_Li8ELi8EEEvPKvS8_S8_Pviiiiii.num_named_barrier, 0
	.set _ZN2at6native30tinygemm_m16n8k16_chunk_kernelINS0_10ALayout_RMILNS0_14KReductionTypeE0EEENS0_15BLayout_TC_int4ILi8ELi256EEES4_Li8ELi8EEEvPKvS8_S8_Pviiiiii.private_seg_size, 0
	.set _ZN2at6native30tinygemm_m16n8k16_chunk_kernelINS0_10ALayout_RMILNS0_14KReductionTypeE0EEENS0_15BLayout_TC_int4ILi8ELi256EEES4_Li8ELi8EEEvPKvS8_S8_Pviiiiii.uses_vcc, 1
	.set _ZN2at6native30tinygemm_m16n8k16_chunk_kernelINS0_10ALayout_RMILNS0_14KReductionTypeE0EEENS0_15BLayout_TC_int4ILi8ELi256EEES4_Li8ELi8EEEvPKvS8_S8_Pviiiiii.uses_flat_scratch, 0
	.set _ZN2at6native30tinygemm_m16n8k16_chunk_kernelINS0_10ALayout_RMILNS0_14KReductionTypeE0EEENS0_15BLayout_TC_int4ILi8ELi256EEES4_Li8ELi8EEEvPKvS8_S8_Pviiiiii.has_dyn_sized_stack, 0
	.set _ZN2at6native30tinygemm_m16n8k16_chunk_kernelINS0_10ALayout_RMILNS0_14KReductionTypeE0EEENS0_15BLayout_TC_int4ILi8ELi256EEES4_Li8ELi8EEEvPKvS8_S8_Pviiiiii.has_recursion, 0
	.set _ZN2at6native30tinygemm_m16n8k16_chunk_kernelINS0_10ALayout_RMILNS0_14KReductionTypeE0EEENS0_15BLayout_TC_int4ILi8ELi256EEES4_Li8ELi8EEEvPKvS8_S8_Pviiiiii.has_indirect_call, 0
	.section	.AMDGPU.csdata,"",@progbits
; Kernel info:
; codeLenInByte = 5440
; TotalNumSgprs: 20
; NumVgprs: 33
; ScratchSize: 0
; MemoryBound: 0
; FloatMode: 240
; IeeeMode: 1
; LDSByteSize: 0 bytes/workgroup (compile time only)
; SGPRBlocks: 0
; VGPRBlocks: 2
; NumSGPRsForWavesPerEU: 20
; NumVGPRsForWavesPerEU: 33
; NamedBarCnt: 0
; Occupancy: 16
; WaveLimiterHint : 1
; COMPUTE_PGM_RSRC2:SCRATCH_EN: 0
; COMPUTE_PGM_RSRC2:USER_SGPR: 2
; COMPUTE_PGM_RSRC2:TRAP_HANDLER: 0
; COMPUTE_PGM_RSRC2:TGID_X_EN: 1
; COMPUTE_PGM_RSRC2:TGID_Y_EN: 0
; COMPUTE_PGM_RSRC2:TGID_Z_EN: 0
; COMPUTE_PGM_RSRC2:TIDIG_COMP_CNT: 0
	.section	.text._ZN2at6native31matrix_to_m16n8k16_Bint4_layoutILi2EEEvN5torch10headeronly6detail27GenericPackedTensorAccessorINS4_14TensorAccessorIN3c108ArrayRefIlEEhLm1ENS3_17RestrictPtrTraitsEiEENS_6detail16IndexBoundsCheckILm2EiEEhLm2ESA_iEENS5_INS6_IS9_iLm3ESA_iEENSD_ILm4EiEEiLm4ESA_iEE,"axG",@progbits,_ZN2at6native31matrix_to_m16n8k16_Bint4_layoutILi2EEEvN5torch10headeronly6detail27GenericPackedTensorAccessorINS4_14TensorAccessorIN3c108ArrayRefIlEEhLm1ENS3_17RestrictPtrTraitsEiEENS_6detail16IndexBoundsCheckILm2EiEEhLm2ESA_iEENS5_INS6_IS9_iLm3ESA_iEENSD_ILm4EiEEiLm4ESA_iEE,comdat
	.protected	_ZN2at6native31matrix_to_m16n8k16_Bint4_layoutILi2EEEvN5torch10headeronly6detail27GenericPackedTensorAccessorINS4_14TensorAccessorIN3c108ArrayRefIlEEhLm1ENS3_17RestrictPtrTraitsEiEENS_6detail16IndexBoundsCheckILm2EiEEhLm2ESA_iEENS5_INS6_IS9_iLm3ESA_iEENSD_ILm4EiEEiLm4ESA_iEE ; -- Begin function _ZN2at6native31matrix_to_m16n8k16_Bint4_layoutILi2EEEvN5torch10headeronly6detail27GenericPackedTensorAccessorINS4_14TensorAccessorIN3c108ArrayRefIlEEhLm1ENS3_17RestrictPtrTraitsEiEENS_6detail16IndexBoundsCheckILm2EiEEhLm2ESA_iEENS5_INS6_IS9_iLm3ESA_iEENSD_ILm4EiEEiLm4ESA_iEE
	.globl	_ZN2at6native31matrix_to_m16n8k16_Bint4_layoutILi2EEEvN5torch10headeronly6detail27GenericPackedTensorAccessorINS4_14TensorAccessorIN3c108ArrayRefIlEEhLm1ENS3_17RestrictPtrTraitsEiEENS_6detail16IndexBoundsCheckILm2EiEEhLm2ESA_iEENS5_INS6_IS9_iLm3ESA_iEENSD_ILm4EiEEiLm4ESA_iEE
	.p2align	8
	.type	_ZN2at6native31matrix_to_m16n8k16_Bint4_layoutILi2EEEvN5torch10headeronly6detail27GenericPackedTensorAccessorINS4_14TensorAccessorIN3c108ArrayRefIlEEhLm1ENS3_17RestrictPtrTraitsEiEENS_6detail16IndexBoundsCheckILm2EiEEhLm2ESA_iEENS5_INS6_IS9_iLm3ESA_iEENSD_ILm4EiEEiLm4ESA_iEE,@function
_ZN2at6native31matrix_to_m16n8k16_Bint4_layoutILi2EEEvN5torch10headeronly6detail27GenericPackedTensorAccessorINS4_14TensorAccessorIN3c108ArrayRefIlEEhLm1ENS3_17RestrictPtrTraitsEiEENS_6detail16IndexBoundsCheckILm2EiEEhLm2ESA_iEENS5_INS6_IS9_iLm3ESA_iEENSD_ILm4EiEEiLm4ESA_iEE: ; @_ZN2at6native31matrix_to_m16n8k16_Bint4_layoutILi2EEEvN5torch10headeronly6detail27GenericPackedTensorAccessorINS4_14TensorAccessorIN3c108ArrayRefIlEEhLm1ENS3_17RestrictPtrTraitsEiEENS_6detail16IndexBoundsCheckILm2EiEEhLm2ESA_iEENS5_INS6_IS9_iLm3ESA_iEENSD_ILm4EiEEiLm4ESA_iEE
; %bb.0:
	s_clause 0x1
	s_load_b96 s[4:6], s[0:1], 0x8
	s_load_b64 s[10:11], s[0:1], 0x0
	s_bfe_u32 s3, ttmp6, 0x4000c
	s_bfe_u32 s7, ttmp6, 0x40010
	s_add_co_i32 s3, s3, 1
	s_add_co_i32 s7, s7, 1
	s_and_b32 s2, ttmp6, 15
	s_mul_i32 s3, ttmp9, s3
	s_mul_i32 s7, ttmp7, s7
	s_bfe_u32 s8, ttmp6, 0x40004
	s_add_co_i32 s2, s2, s3
	s_getreg_b32 s3, hwreg(HW_REG_IB_STS2, 6, 4)
	s_add_co_i32 s8, s8, s7
	v_dual_lshrrev_b32 v3, 3, v0 :: v_dual_bitop2_b32 v1, 15, v0 bitop3:0x40
	s_cmp_eq_u32 s3, 0
	s_cselect_b32 s3, ttmp7, s8
	s_cselect_b32 s8, ttmp9, s2
	s_delay_alu instid0(VALU_DEP_1) | instskip(SKIP_2) | instid1(SALU_CYCLE_1)
	v_lshl_or_b32 v1, s3, 4, v1
	v_and_b32_e32 v3, 0x7e, v3
	s_lshl_b32 s2, s8, 4
	s_and_b32 s2, s2, 0x7ffffff0
	s_wait_kmcnt 0x0
	v_mul_lo_u32 v2, s6, v1
	v_add_nc_u32_e32 v4, s2, v3
	v_cmp_gt_u32_e32 vcc_lo, s4, v1
	s_delay_alu instid0(VALU_DEP_3) | instskip(NEXT) | instid1(VALU_DEP_3)
	v_dual_mov_b32 v1, 0 :: v_dual_ashrrev_i32 v3, 31, v2
	v_cmp_gt_i32_e64 s2, s5, v4
	v_dual_mov_b32 v6, 0 :: v_dual_ashrrev_i32 v5, 31, v4
	s_delay_alu instid0(VALU_DEP_3) | instskip(SKIP_1) | instid1(SALU_CYCLE_1)
	v_add_nc_u64_e32 v[2:3], s[10:11], v[2:3]
	s_and_b32 s4, vcc_lo, s2
	s_and_saveexec_b32 s2, s4
	s_cbranch_execz .LBB12_2
; %bb.1:
	s_delay_alu instid0(VALU_DEP_1)
	v_add_nc_u64_e32 v[8:9], v[2:3], v[4:5]
	global_load_u8 v1, v[8:9], off
.LBB12_2:
	s_wait_xcnt 0x0
	s_or_b32 exec_lo, exec_lo, s2
	v_or_b32_e32 v7, 1, v4
	s_delay_alu instid0(VALU_DEP_1) | instskip(SKIP_2) | instid1(SALU_CYCLE_1)
	v_cmp_gt_i32_e64 s2, s5, v7
	v_mov_b32_e32 v7, 0
	s_and_b32 s4, vcc_lo, s2
	s_and_saveexec_b32 s2, s4
	s_cbranch_execz .LBB12_4
; %bb.3:
	v_add_nc_u64_e32 v[8:9], v[2:3], v[4:5]
	global_load_u8 v7, v[8:9], off offset:1
.LBB12_4:
	s_wait_xcnt 0x0
	s_or_b32 exec_lo, exec_lo, s2
	s_load_b64 s[6:7], s[0:1], 0x18
	v_add_nc_u32_e32 v4, 8, v4
	s_delay_alu instid0(VALU_DEP_1) | instskip(SKIP_2) | instid1(SALU_CYCLE_1)
	v_cmp_gt_i32_e64 s2, s5, v4
	v_ashrrev_i32_e32 v5, 31, v4
	s_and_b32 s4, vcc_lo, s2
	s_and_saveexec_b32 s2, s4
	s_cbranch_execz .LBB12_6
; %bb.5:
	s_delay_alu instid0(VALU_DEP_1)
	v_add_nc_u64_e32 v[8:9], v[2:3], v[4:5]
	global_load_u8 v6, v[8:9], off
.LBB12_6:
	s_wait_xcnt 0x0
	s_or_b32 exec_lo, exec_lo, s2
	s_load_b32 s1, s[0:1], 0x24
	v_or_b32_e32 v8, 1, v4
	s_wait_xcnt 0x0
	s_delay_alu instid0(VALU_DEP_1) | instskip(SKIP_2) | instid1(SALU_CYCLE_1)
	v_cmp_gt_i32_e64 s0, s5, v8
	v_mov_b32_e32 v8, 0
	s_and_b32 s2, vcc_lo, s0
	s_and_saveexec_b32 s0, s2
	s_cbranch_execz .LBB12_8
; %bb.7:
	v_add_nc_u64_e32 v[2:3], v[2:3], v[4:5]
	global_load_u8 v8, v[2:3], off offset:1
.LBB12_8:
	s_wait_xcnt 0x0
	s_or_b32 exec_lo, exec_lo, s0
	s_wait_loadcnt 0x0
	v_dual_lshlrev_b32 v2, 28, v8 :: v_dual_lshlrev_b32 v3, 24, v6
	v_dual_lshlrev_b32 v4, 20, v7 :: v_dual_lshlrev_b32 v5, 16, v1
	v_dual_lshrrev_b32 v1, 4, v1 :: v_dual_lshlrev_b32 v6, 4, v6
	s_delay_alu instid0(VALU_DEP_3) | instskip(NEXT) | instid1(VALU_DEP_3)
	v_and_or_b32 v2, 0xf000000, v3, v2
	v_and_b32_e32 v3, 0xf00000, v4
	v_lshlrev_b32_e32 v4, 8, v8
	v_and_b32_e32 v5, 0xf0000, v5
	v_and_b32_e32 v6, 0xf00, v6
	s_wait_kmcnt 0x0
	s_mul_i32 s0, s1, s3
	v_and_b32_e32 v4, 0xf000, v4
	v_or3_b32 v2, v2, v3, v5
	v_and_b32_e32 v3, 0xf0, v7
	s_add_co_i32 s0, s0, s8
	s_delay_alu instid0(SALU_CYCLE_1) | instskip(NEXT) | instid1(VALU_DEP_3)
	v_lshl_add_u32 v0, s0, 6, v0
	v_or3_b32 v2, v2, v4, v6
	s_delay_alu instid0(VALU_DEP_1)
	v_or3_b32 v1, v2, v3, v1
	global_store_b32 v0, v1, s[6:7] scale_offset
	s_endpgm
	.section	.rodata,"a",@progbits
	.p2align	6, 0x0
	.amdhsa_kernel _ZN2at6native31matrix_to_m16n8k16_Bint4_layoutILi2EEEvN5torch10headeronly6detail27GenericPackedTensorAccessorINS4_14TensorAccessorIN3c108ArrayRefIlEEhLm1ENS3_17RestrictPtrTraitsEiEENS_6detail16IndexBoundsCheckILm2EiEEhLm2ESA_iEENS5_INS6_IS9_iLm3ESA_iEENSD_ILm4EiEEiLm4ESA_iEE
		.amdhsa_group_segment_fixed_size 0
		.amdhsa_private_segment_fixed_size 0
		.amdhsa_kernarg_size 64
		.amdhsa_user_sgpr_count 2
		.amdhsa_user_sgpr_dispatch_ptr 0
		.amdhsa_user_sgpr_queue_ptr 0
		.amdhsa_user_sgpr_kernarg_segment_ptr 1
		.amdhsa_user_sgpr_dispatch_id 0
		.amdhsa_user_sgpr_kernarg_preload_length 0
		.amdhsa_user_sgpr_kernarg_preload_offset 0
		.amdhsa_user_sgpr_private_segment_size 0
		.amdhsa_wavefront_size32 1
		.amdhsa_uses_dynamic_stack 0
		.amdhsa_enable_private_segment 0
		.amdhsa_system_sgpr_workgroup_id_x 1
		.amdhsa_system_sgpr_workgroup_id_y 1
		.amdhsa_system_sgpr_workgroup_id_z 0
		.amdhsa_system_sgpr_workgroup_info 0
		.amdhsa_system_vgpr_workitem_id 0
		.amdhsa_next_free_vgpr 10
		.amdhsa_next_free_sgpr 12
		.amdhsa_named_barrier_count 0
		.amdhsa_reserve_vcc 1
		.amdhsa_float_round_mode_32 0
		.amdhsa_float_round_mode_16_64 0
		.amdhsa_float_denorm_mode_32 3
		.amdhsa_float_denorm_mode_16_64 3
		.amdhsa_fp16_overflow 0
		.amdhsa_memory_ordered 1
		.amdhsa_forward_progress 1
		.amdhsa_inst_pref_size 5
		.amdhsa_round_robin_scheduling 0
		.amdhsa_exception_fp_ieee_invalid_op 0
		.amdhsa_exception_fp_denorm_src 0
		.amdhsa_exception_fp_ieee_div_zero 0
		.amdhsa_exception_fp_ieee_overflow 0
		.amdhsa_exception_fp_ieee_underflow 0
		.amdhsa_exception_fp_ieee_inexact 0
		.amdhsa_exception_int_div_zero 0
	.end_amdhsa_kernel
	.section	.text._ZN2at6native31matrix_to_m16n8k16_Bint4_layoutILi2EEEvN5torch10headeronly6detail27GenericPackedTensorAccessorINS4_14TensorAccessorIN3c108ArrayRefIlEEhLm1ENS3_17RestrictPtrTraitsEiEENS_6detail16IndexBoundsCheckILm2EiEEhLm2ESA_iEENS5_INS6_IS9_iLm3ESA_iEENSD_ILm4EiEEiLm4ESA_iEE,"axG",@progbits,_ZN2at6native31matrix_to_m16n8k16_Bint4_layoutILi2EEEvN5torch10headeronly6detail27GenericPackedTensorAccessorINS4_14TensorAccessorIN3c108ArrayRefIlEEhLm1ENS3_17RestrictPtrTraitsEiEENS_6detail16IndexBoundsCheckILm2EiEEhLm2ESA_iEENS5_INS6_IS9_iLm3ESA_iEENSD_ILm4EiEEiLm4ESA_iEE,comdat
.Lfunc_end12:
	.size	_ZN2at6native31matrix_to_m16n8k16_Bint4_layoutILi2EEEvN5torch10headeronly6detail27GenericPackedTensorAccessorINS4_14TensorAccessorIN3c108ArrayRefIlEEhLm1ENS3_17RestrictPtrTraitsEiEENS_6detail16IndexBoundsCheckILm2EiEEhLm2ESA_iEENS5_INS6_IS9_iLm3ESA_iEENSD_ILm4EiEEiLm4ESA_iEE, .Lfunc_end12-_ZN2at6native31matrix_to_m16n8k16_Bint4_layoutILi2EEEvN5torch10headeronly6detail27GenericPackedTensorAccessorINS4_14TensorAccessorIN3c108ArrayRefIlEEhLm1ENS3_17RestrictPtrTraitsEiEENS_6detail16IndexBoundsCheckILm2EiEEhLm2ESA_iEENS5_INS6_IS9_iLm3ESA_iEENSD_ILm4EiEEiLm4ESA_iEE
                                        ; -- End function
	.set _ZN2at6native31matrix_to_m16n8k16_Bint4_layoutILi2EEEvN5torch10headeronly6detail27GenericPackedTensorAccessorINS4_14TensorAccessorIN3c108ArrayRefIlEEhLm1ENS3_17RestrictPtrTraitsEiEENS_6detail16IndexBoundsCheckILm2EiEEhLm2ESA_iEENS5_INS6_IS9_iLm3ESA_iEENSD_ILm4EiEEiLm4ESA_iEE.num_vgpr, 10
	.set _ZN2at6native31matrix_to_m16n8k16_Bint4_layoutILi2EEEvN5torch10headeronly6detail27GenericPackedTensorAccessorINS4_14TensorAccessorIN3c108ArrayRefIlEEhLm1ENS3_17RestrictPtrTraitsEiEENS_6detail16IndexBoundsCheckILm2EiEEhLm2ESA_iEENS5_INS6_IS9_iLm3ESA_iEENSD_ILm4EiEEiLm4ESA_iEE.num_agpr, 0
	.set _ZN2at6native31matrix_to_m16n8k16_Bint4_layoutILi2EEEvN5torch10headeronly6detail27GenericPackedTensorAccessorINS4_14TensorAccessorIN3c108ArrayRefIlEEhLm1ENS3_17RestrictPtrTraitsEiEENS_6detail16IndexBoundsCheckILm2EiEEhLm2ESA_iEENS5_INS6_IS9_iLm3ESA_iEENSD_ILm4EiEEiLm4ESA_iEE.numbered_sgpr, 12
	.set _ZN2at6native31matrix_to_m16n8k16_Bint4_layoutILi2EEEvN5torch10headeronly6detail27GenericPackedTensorAccessorINS4_14TensorAccessorIN3c108ArrayRefIlEEhLm1ENS3_17RestrictPtrTraitsEiEENS_6detail16IndexBoundsCheckILm2EiEEhLm2ESA_iEENS5_INS6_IS9_iLm3ESA_iEENSD_ILm4EiEEiLm4ESA_iEE.num_named_barrier, 0
	.set _ZN2at6native31matrix_to_m16n8k16_Bint4_layoutILi2EEEvN5torch10headeronly6detail27GenericPackedTensorAccessorINS4_14TensorAccessorIN3c108ArrayRefIlEEhLm1ENS3_17RestrictPtrTraitsEiEENS_6detail16IndexBoundsCheckILm2EiEEhLm2ESA_iEENS5_INS6_IS9_iLm3ESA_iEENSD_ILm4EiEEiLm4ESA_iEE.private_seg_size, 0
	.set _ZN2at6native31matrix_to_m16n8k16_Bint4_layoutILi2EEEvN5torch10headeronly6detail27GenericPackedTensorAccessorINS4_14TensorAccessorIN3c108ArrayRefIlEEhLm1ENS3_17RestrictPtrTraitsEiEENS_6detail16IndexBoundsCheckILm2EiEEhLm2ESA_iEENS5_INS6_IS9_iLm3ESA_iEENSD_ILm4EiEEiLm4ESA_iEE.uses_vcc, 1
	.set _ZN2at6native31matrix_to_m16n8k16_Bint4_layoutILi2EEEvN5torch10headeronly6detail27GenericPackedTensorAccessorINS4_14TensorAccessorIN3c108ArrayRefIlEEhLm1ENS3_17RestrictPtrTraitsEiEENS_6detail16IndexBoundsCheckILm2EiEEhLm2ESA_iEENS5_INS6_IS9_iLm3ESA_iEENSD_ILm4EiEEiLm4ESA_iEE.uses_flat_scratch, 0
	.set _ZN2at6native31matrix_to_m16n8k16_Bint4_layoutILi2EEEvN5torch10headeronly6detail27GenericPackedTensorAccessorINS4_14TensorAccessorIN3c108ArrayRefIlEEhLm1ENS3_17RestrictPtrTraitsEiEENS_6detail16IndexBoundsCheckILm2EiEEhLm2ESA_iEENS5_INS6_IS9_iLm3ESA_iEENSD_ILm4EiEEiLm4ESA_iEE.has_dyn_sized_stack, 0
	.set _ZN2at6native31matrix_to_m16n8k16_Bint4_layoutILi2EEEvN5torch10headeronly6detail27GenericPackedTensorAccessorINS4_14TensorAccessorIN3c108ArrayRefIlEEhLm1ENS3_17RestrictPtrTraitsEiEENS_6detail16IndexBoundsCheckILm2EiEEhLm2ESA_iEENS5_INS6_IS9_iLm3ESA_iEENSD_ILm4EiEEiLm4ESA_iEE.has_recursion, 0
	.set _ZN2at6native31matrix_to_m16n8k16_Bint4_layoutILi2EEEvN5torch10headeronly6detail27GenericPackedTensorAccessorINS4_14TensorAccessorIN3c108ArrayRefIlEEhLm1ENS3_17RestrictPtrTraitsEiEENS_6detail16IndexBoundsCheckILm2EiEEhLm2ESA_iEENS5_INS6_IS9_iLm3ESA_iEENSD_ILm4EiEEiLm4ESA_iEE.has_indirect_call, 0
	.section	.AMDGPU.csdata,"",@progbits
; Kernel info:
; codeLenInByte = 592
; TotalNumSgprs: 14
; NumVgprs: 10
; ScratchSize: 0
; MemoryBound: 0
; FloatMode: 240
; IeeeMode: 1
; LDSByteSize: 0 bytes/workgroup (compile time only)
; SGPRBlocks: 0
; VGPRBlocks: 0
; NumSGPRsForWavesPerEU: 14
; NumVGPRsForWavesPerEU: 10
; NamedBarCnt: 0
; Occupancy: 16
; WaveLimiterHint : 0
; COMPUTE_PGM_RSRC2:SCRATCH_EN: 0
; COMPUTE_PGM_RSRC2:USER_SGPR: 2
; COMPUTE_PGM_RSRC2:TRAP_HANDLER: 0
; COMPUTE_PGM_RSRC2:TGID_X_EN: 1
; COMPUTE_PGM_RSRC2:TGID_Y_EN: 1
; COMPUTE_PGM_RSRC2:TGID_Z_EN: 0
; COMPUTE_PGM_RSRC2:TIDIG_COMP_CNT: 0
	.section	.text._ZN2at6native31matrix_to_m16n8k16_Bint4_layoutILi4EEEvN5torch10headeronly6detail27GenericPackedTensorAccessorINS4_14TensorAccessorIN3c108ArrayRefIlEEhLm1ENS3_17RestrictPtrTraitsEiEENS_6detail16IndexBoundsCheckILm2EiEEhLm2ESA_iEENS5_INS6_IS9_iLm3ESA_iEENSD_ILm4EiEEiLm4ESA_iEE,"axG",@progbits,_ZN2at6native31matrix_to_m16n8k16_Bint4_layoutILi4EEEvN5torch10headeronly6detail27GenericPackedTensorAccessorINS4_14TensorAccessorIN3c108ArrayRefIlEEhLm1ENS3_17RestrictPtrTraitsEiEENS_6detail16IndexBoundsCheckILm2EiEEhLm2ESA_iEENS5_INS6_IS9_iLm3ESA_iEENSD_ILm4EiEEiLm4ESA_iEE,comdat
	.protected	_ZN2at6native31matrix_to_m16n8k16_Bint4_layoutILi4EEEvN5torch10headeronly6detail27GenericPackedTensorAccessorINS4_14TensorAccessorIN3c108ArrayRefIlEEhLm1ENS3_17RestrictPtrTraitsEiEENS_6detail16IndexBoundsCheckILm2EiEEhLm2ESA_iEENS5_INS6_IS9_iLm3ESA_iEENSD_ILm4EiEEiLm4ESA_iEE ; -- Begin function _ZN2at6native31matrix_to_m16n8k16_Bint4_layoutILi4EEEvN5torch10headeronly6detail27GenericPackedTensorAccessorINS4_14TensorAccessorIN3c108ArrayRefIlEEhLm1ENS3_17RestrictPtrTraitsEiEENS_6detail16IndexBoundsCheckILm2EiEEhLm2ESA_iEENS5_INS6_IS9_iLm3ESA_iEENSD_ILm4EiEEiLm4ESA_iEE
	.globl	_ZN2at6native31matrix_to_m16n8k16_Bint4_layoutILi4EEEvN5torch10headeronly6detail27GenericPackedTensorAccessorINS4_14TensorAccessorIN3c108ArrayRefIlEEhLm1ENS3_17RestrictPtrTraitsEiEENS_6detail16IndexBoundsCheckILm2EiEEhLm2ESA_iEENS5_INS6_IS9_iLm3ESA_iEENSD_ILm4EiEEiLm4ESA_iEE
	.p2align	8
	.type	_ZN2at6native31matrix_to_m16n8k16_Bint4_layoutILi4EEEvN5torch10headeronly6detail27GenericPackedTensorAccessorINS4_14TensorAccessorIN3c108ArrayRefIlEEhLm1ENS3_17RestrictPtrTraitsEiEENS_6detail16IndexBoundsCheckILm2EiEEhLm2ESA_iEENS5_INS6_IS9_iLm3ESA_iEENSD_ILm4EiEEiLm4ESA_iEE,@function
_ZN2at6native31matrix_to_m16n8k16_Bint4_layoutILi4EEEvN5torch10headeronly6detail27GenericPackedTensorAccessorINS4_14TensorAccessorIN3c108ArrayRefIlEEhLm1ENS3_17RestrictPtrTraitsEiEENS_6detail16IndexBoundsCheckILm2EiEEhLm2ESA_iEENS5_INS6_IS9_iLm3ESA_iEENSD_ILm4EiEEiLm4ESA_iEE: ; @_ZN2at6native31matrix_to_m16n8k16_Bint4_layoutILi4EEEvN5torch10headeronly6detail27GenericPackedTensorAccessorINS4_14TensorAccessorIN3c108ArrayRefIlEEhLm1ENS3_17RestrictPtrTraitsEiEENS_6detail16IndexBoundsCheckILm2EiEEhLm2ESA_iEENS5_INS6_IS9_iLm3ESA_iEENSD_ILm4EiEEiLm4ESA_iEE
; %bb.0:
	s_clause 0x1
	s_load_b96 s[4:6], s[0:1], 0x8
	s_load_b64 s[10:11], s[0:1], 0x0
	s_bfe_u32 s3, ttmp6, 0x4000c
	s_bfe_u32 s7, ttmp6, 0x40010
	s_add_co_i32 s3, s3, 1
	s_add_co_i32 s7, s7, 1
	s_and_b32 s2, ttmp6, 15
	s_mul_i32 s3, ttmp9, s3
	s_mul_i32 s7, ttmp7, s7
	s_bfe_u32 s8, ttmp6, 0x40004
	s_add_co_i32 s2, s2, s3
	s_getreg_b32 s3, hwreg(HW_REG_IB_STS2, 6, 4)
	s_add_co_i32 s8, s8, s7
	v_dual_lshrrev_b32 v3, 3, v0 :: v_dual_bitop2_b32 v1, 15, v0 bitop3:0x40
	s_cmp_eq_u32 s3, 0
	v_mov_b32_e32 v8, 0
	s_cselect_b32 s8, ttmp7, s8
	s_cselect_b32 s3, ttmp9, s2
	v_lshl_or_b32 v1, s8, 4, v1
	v_and_b32_e32 v3, 0x7e, v3
	s_lshl_b32 s2, s3, 5
	s_delay_alu instid0(SALU_CYCLE_1) | instskip(SKIP_4) | instid1(VALU_DEP_3)
	s_and_b32 s2, s2, 0x7fffffe0
	s_wait_kmcnt 0x0
	v_mul_lo_u32 v2, s6, v1
	v_add_nc_u32_e32 v4, s2, v3
	v_cmp_gt_u32_e32 vcc_lo, s4, v1
	v_ashrrev_i32_e32 v3, 31, v2
	s_delay_alu instid0(VALU_DEP_3) | instskip(SKIP_1) | instid1(VALU_DEP_3)
	v_cmp_gt_i32_e64 s2, s5, v4
	v_dual_mov_b32 v9, 0 :: v_dual_ashrrev_i32 v5, 31, v4
	v_add_nc_u64_e32 v[2:3], s[10:11], v[2:3]
	s_and_b32 s4, vcc_lo, s2
	s_delay_alu instid0(SALU_CYCLE_1)
	s_and_saveexec_b32 s2, s4
	s_cbranch_execz .LBB13_2
; %bb.1:
	s_delay_alu instid0(VALU_DEP_1)
	v_add_nc_u64_e32 v[6:7], v[2:3], v[4:5]
	global_load_u8 v8, v[6:7], off
.LBB13_2:
	s_wait_xcnt 0x0
	s_or_b32 exec_lo, exec_lo, s2
	v_dual_mov_b32 v10, 0 :: v_dual_bitop2_b32 v1, 1, v4 bitop3:0x54
	s_delay_alu instid0(VALU_DEP_1) | instskip(SKIP_1) | instid1(SALU_CYCLE_1)
	v_cmp_gt_i32_e64 s2, s5, v1
	s_and_b32 s4, vcc_lo, s2
	s_and_saveexec_b32 s2, s4
	s_cbranch_execz .LBB13_4
; %bb.3:
	v_add_nc_u64_e32 v[6:7], v[2:3], v[4:5]
	global_load_u8 v10, v[6:7], off offset:1
.LBB13_4:
	s_wait_xcnt 0x0
	s_or_b32 exec_lo, exec_lo, s2
	s_load_b64 s[6:7], s[0:1], 0x18
	v_add_nc_u32_e32 v6, 8, v4
	s_delay_alu instid0(VALU_DEP_1) | instskip(SKIP_2) | instid1(SALU_CYCLE_1)
	v_cmp_gt_i32_e64 s2, s5, v6
	v_ashrrev_i32_e32 v7, 31, v6
	s_and_b32 s4, vcc_lo, s2
	s_and_saveexec_b32 s2, s4
	s_cbranch_execz .LBB13_6
; %bb.5:
	s_delay_alu instid0(VALU_DEP_1)
	v_add_nc_u64_e32 v[12:13], v[2:3], v[6:7]
	global_load_u8 v9, v[12:13], off
.LBB13_6:
	s_wait_xcnt 0x0
	s_or_b32 exec_lo, exec_lo, s2
	s_load_b32 s1, s[0:1], 0x24
	v_dual_mov_b32 v5, 0 :: v_dual_bitop2_b32 v1, 1, v6 bitop3:0x54
	s_wait_xcnt 0x0
	s_delay_alu instid0(VALU_DEP_1) | instskip(SKIP_2) | instid1(SALU_CYCLE_1)
	v_cmp_gt_i32_e64 s0, s5, v1
	v_mov_b32_e32 v1, 0
	s_and_b32 s2, vcc_lo, s0
	s_and_saveexec_b32 s0, s2
	s_cbranch_execz .LBB13_8
; %bb.7:
	v_add_nc_u64_e32 v[6:7], v[2:3], v[6:7]
	global_load_u8 v5, v[6:7], off offset:1
.LBB13_8:
	s_wait_xcnt 0x0
	s_or_b32 exec_lo, exec_lo, s0
	s_wait_loadcnt 0x0
	v_dual_lshlrev_b32 v6, 28, v5 :: v_dual_lshlrev_b32 v11, 20, v10
	v_dual_lshlrev_b32 v7, 24, v9 :: v_dual_lshlrev_b32 v12, 16, v8
	;; [unrolled: 1-line block ×3, first 2 shown]
	v_dual_lshlrev_b32 v9, 4, v9 :: v_dual_lshrrev_b32 v8, 4, v8
	s_delay_alu instid0(VALU_DEP_3)
	v_and_or_b32 v6, 0xf000000, v7, v6
	v_and_b32_e32 v7, 0xf00000, v11
	v_and_b32_e32 v11, 0xf0000, v12
	;; [unrolled: 1-line block ×4, first 2 shown]
	s_wait_kmcnt 0x0
	s_mul_i32 s0, s1, s8
	v_or3_b32 v6, v6, v7, v11
	v_and_b32_e32 v7, 0xf0, v10
	s_add_co_i32 s0, s0, s3
	s_delay_alu instid0(SALU_CYCLE_1) | instskip(NEXT) | instid1(VALU_DEP_3)
	v_lshl_add_u32 v0, s0, 7, v0
	v_or3_b32 v5, v6, v5, v9
	v_add_nc_u32_e32 v6, 16, v4
	s_delay_alu instid0(VALU_DEP_2) | instskip(SKIP_1) | instid1(VALU_DEP_3)
	v_or3_b32 v5, v5, v7, v8
	v_mov_b32_e32 v8, 0
	v_cmp_gt_i32_e64 s0, s5, v6
	v_ashrrev_i32_e32 v7, 31, v6
	global_store_b32 v0, v5, s[6:7] scale_offset
	s_and_b32 s1, vcc_lo, s0
	s_wait_xcnt 0x0
	s_and_saveexec_b32 s0, s1
	s_cbranch_execz .LBB13_10
; %bb.9:
	v_add_nc_u64_e32 v[8:9], v[2:3], v[6:7]
	global_load_u8 v8, v[8:9], off
.LBB13_10:
	s_wait_xcnt 0x0
	s_or_b32 exec_lo, exec_lo, s0
	v_dual_mov_b32 v10, 0 :: v_dual_bitop2_b32 v5, 1, v6 bitop3:0x54
	v_mov_b32_e32 v9, 0
	s_delay_alu instid0(VALU_DEP_2) | instskip(SKIP_1) | instid1(SALU_CYCLE_1)
	v_cmp_gt_i32_e64 s0, s5, v5
	s_and_b32 s1, vcc_lo, s0
	s_and_saveexec_b32 s0, s1
	s_cbranch_execz .LBB13_12
; %bb.11:
	v_add_nc_u64_e32 v[6:7], v[2:3], v[6:7]
	global_load_u8 v9, v[6:7], off offset:1
.LBB13_12:
	s_wait_xcnt 0x0
	s_or_b32 exec_lo, exec_lo, s0
	v_add_nc_u32_e32 v4, 24, v4
	s_delay_alu instid0(VALU_DEP_1) | instskip(SKIP_2) | instid1(SALU_CYCLE_1)
	v_cmp_gt_i32_e64 s0, s5, v4
	v_ashrrev_i32_e32 v5, 31, v4
	s_and_b32 s1, vcc_lo, s0
	s_and_saveexec_b32 s0, s1
	s_cbranch_execz .LBB13_14
; %bb.13:
	s_delay_alu instid0(VALU_DEP_1)
	v_add_nc_u64_e32 v[6:7], v[2:3], v[4:5]
	global_load_u8 v10, v[6:7], off
.LBB13_14:
	s_wait_xcnt 0x0
	s_or_b32 exec_lo, exec_lo, s0
	v_or_b32_e32 v6, 1, v4
	v_lshl_add_u64 v[0:1], v[0:1], 2, s[6:7]
	s_delay_alu instid0(VALU_DEP_2) | instskip(SKIP_2) | instid1(SALU_CYCLE_1)
	v_cmp_gt_i32_e64 s0, s5, v6
	v_mov_b32_e32 v6, 0
	s_and_b32 s1, vcc_lo, s0
	s_and_saveexec_b32 s0, s1
	s_cbranch_execz .LBB13_16
; %bb.15:
	v_add_nc_u64_e32 v[2:3], v[2:3], v[4:5]
	global_load_u8 v6, v[2:3], off offset:1
.LBB13_16:
	s_wait_xcnt 0x0
	s_or_b32 exec_lo, exec_lo, s0
	s_wait_loadcnt 0x0
	v_dual_lshlrev_b32 v2, 28, v6 :: v_dual_lshlrev_b32 v4, 20, v9
	v_dual_lshlrev_b32 v3, 24, v10 :: v_dual_lshlrev_b32 v5, 16, v8
	s_delay_alu instid0(VALU_DEP_1) | instskip(NEXT) | instid1(VALU_DEP_3)
	v_and_or_b32 v2, 0xf000000, v3, v2
	v_and_b32_e32 v3, 0xf00000, v4
	v_lshlrev_b32_e32 v4, 8, v6
	v_lshlrev_b32_e32 v6, 4, v10
	v_and_b32_e32 v5, 0xf0000, v5
	s_delay_alu instid0(VALU_DEP_3) | instskip(NEXT) | instid1(VALU_DEP_3)
	v_and_b32_e32 v4, 0xf000, v4
	v_and_b32_e32 v6, 0xf00, v6
	s_delay_alu instid0(VALU_DEP_3) | instskip(SKIP_1) | instid1(VALU_DEP_2)
	v_or3_b32 v2, v2, v3, v5
	v_and_b32_e32 v3, 0xf0, v9
	v_or3_b32 v2, v2, v4, v6
	v_lshrrev_b32_e32 v4, 4, v8
	s_delay_alu instid0(VALU_DEP_1)
	v_or3_b32 v2, v2, v3, v4
	global_store_b32 v[0:1], v2, off offset:4
	s_endpgm
	.section	.rodata,"a",@progbits
	.p2align	6, 0x0
	.amdhsa_kernel _ZN2at6native31matrix_to_m16n8k16_Bint4_layoutILi4EEEvN5torch10headeronly6detail27GenericPackedTensorAccessorINS4_14TensorAccessorIN3c108ArrayRefIlEEhLm1ENS3_17RestrictPtrTraitsEiEENS_6detail16IndexBoundsCheckILm2EiEEhLm2ESA_iEENS5_INS6_IS9_iLm3ESA_iEENSD_ILm4EiEEiLm4ESA_iEE
		.amdhsa_group_segment_fixed_size 0
		.amdhsa_private_segment_fixed_size 0
		.amdhsa_kernarg_size 64
		.amdhsa_user_sgpr_count 2
		.amdhsa_user_sgpr_dispatch_ptr 0
		.amdhsa_user_sgpr_queue_ptr 0
		.amdhsa_user_sgpr_kernarg_segment_ptr 1
		.amdhsa_user_sgpr_dispatch_id 0
		.amdhsa_user_sgpr_kernarg_preload_length 0
		.amdhsa_user_sgpr_kernarg_preload_offset 0
		.amdhsa_user_sgpr_private_segment_size 0
		.amdhsa_wavefront_size32 1
		.amdhsa_uses_dynamic_stack 0
		.amdhsa_enable_private_segment 0
		.amdhsa_system_sgpr_workgroup_id_x 1
		.amdhsa_system_sgpr_workgroup_id_y 1
		.amdhsa_system_sgpr_workgroup_id_z 0
		.amdhsa_system_sgpr_workgroup_info 0
		.amdhsa_system_vgpr_workitem_id 0
		.amdhsa_next_free_vgpr 14
		.amdhsa_next_free_sgpr 12
		.amdhsa_named_barrier_count 0
		.amdhsa_reserve_vcc 1
		.amdhsa_float_round_mode_32 0
		.amdhsa_float_round_mode_16_64 0
		.amdhsa_float_denorm_mode_32 3
		.amdhsa_float_denorm_mode_16_64 3
		.amdhsa_fp16_overflow 0
		.amdhsa_memory_ordered 1
		.amdhsa_forward_progress 1
		.amdhsa_inst_pref_size 8
		.amdhsa_round_robin_scheduling 0
		.amdhsa_exception_fp_ieee_invalid_op 0
		.amdhsa_exception_fp_denorm_src 0
		.amdhsa_exception_fp_ieee_div_zero 0
		.amdhsa_exception_fp_ieee_overflow 0
		.amdhsa_exception_fp_ieee_underflow 0
		.amdhsa_exception_fp_ieee_inexact 0
		.amdhsa_exception_int_div_zero 0
	.end_amdhsa_kernel
	.section	.text._ZN2at6native31matrix_to_m16n8k16_Bint4_layoutILi4EEEvN5torch10headeronly6detail27GenericPackedTensorAccessorINS4_14TensorAccessorIN3c108ArrayRefIlEEhLm1ENS3_17RestrictPtrTraitsEiEENS_6detail16IndexBoundsCheckILm2EiEEhLm2ESA_iEENS5_INS6_IS9_iLm3ESA_iEENSD_ILm4EiEEiLm4ESA_iEE,"axG",@progbits,_ZN2at6native31matrix_to_m16n8k16_Bint4_layoutILi4EEEvN5torch10headeronly6detail27GenericPackedTensorAccessorINS4_14TensorAccessorIN3c108ArrayRefIlEEhLm1ENS3_17RestrictPtrTraitsEiEENS_6detail16IndexBoundsCheckILm2EiEEhLm2ESA_iEENS5_INS6_IS9_iLm3ESA_iEENSD_ILm4EiEEiLm4ESA_iEE,comdat
.Lfunc_end13:
	.size	_ZN2at6native31matrix_to_m16n8k16_Bint4_layoutILi4EEEvN5torch10headeronly6detail27GenericPackedTensorAccessorINS4_14TensorAccessorIN3c108ArrayRefIlEEhLm1ENS3_17RestrictPtrTraitsEiEENS_6detail16IndexBoundsCheckILm2EiEEhLm2ESA_iEENS5_INS6_IS9_iLm3ESA_iEENSD_ILm4EiEEiLm4ESA_iEE, .Lfunc_end13-_ZN2at6native31matrix_to_m16n8k16_Bint4_layoutILi4EEEvN5torch10headeronly6detail27GenericPackedTensorAccessorINS4_14TensorAccessorIN3c108ArrayRefIlEEhLm1ENS3_17RestrictPtrTraitsEiEENS_6detail16IndexBoundsCheckILm2EiEEhLm2ESA_iEENS5_INS6_IS9_iLm3ESA_iEENSD_ILm4EiEEiLm4ESA_iEE
                                        ; -- End function
	.set _ZN2at6native31matrix_to_m16n8k16_Bint4_layoutILi4EEEvN5torch10headeronly6detail27GenericPackedTensorAccessorINS4_14TensorAccessorIN3c108ArrayRefIlEEhLm1ENS3_17RestrictPtrTraitsEiEENS_6detail16IndexBoundsCheckILm2EiEEhLm2ESA_iEENS5_INS6_IS9_iLm3ESA_iEENSD_ILm4EiEEiLm4ESA_iEE.num_vgpr, 14
	.set _ZN2at6native31matrix_to_m16n8k16_Bint4_layoutILi4EEEvN5torch10headeronly6detail27GenericPackedTensorAccessorINS4_14TensorAccessorIN3c108ArrayRefIlEEhLm1ENS3_17RestrictPtrTraitsEiEENS_6detail16IndexBoundsCheckILm2EiEEhLm2ESA_iEENS5_INS6_IS9_iLm3ESA_iEENSD_ILm4EiEEiLm4ESA_iEE.num_agpr, 0
	.set _ZN2at6native31matrix_to_m16n8k16_Bint4_layoutILi4EEEvN5torch10headeronly6detail27GenericPackedTensorAccessorINS4_14TensorAccessorIN3c108ArrayRefIlEEhLm1ENS3_17RestrictPtrTraitsEiEENS_6detail16IndexBoundsCheckILm2EiEEhLm2ESA_iEENS5_INS6_IS9_iLm3ESA_iEENSD_ILm4EiEEiLm4ESA_iEE.numbered_sgpr, 12
	.set _ZN2at6native31matrix_to_m16n8k16_Bint4_layoutILi4EEEvN5torch10headeronly6detail27GenericPackedTensorAccessorINS4_14TensorAccessorIN3c108ArrayRefIlEEhLm1ENS3_17RestrictPtrTraitsEiEENS_6detail16IndexBoundsCheckILm2EiEEhLm2ESA_iEENS5_INS6_IS9_iLm3ESA_iEENSD_ILm4EiEEiLm4ESA_iEE.num_named_barrier, 0
	.set _ZN2at6native31matrix_to_m16n8k16_Bint4_layoutILi4EEEvN5torch10headeronly6detail27GenericPackedTensorAccessorINS4_14TensorAccessorIN3c108ArrayRefIlEEhLm1ENS3_17RestrictPtrTraitsEiEENS_6detail16IndexBoundsCheckILm2EiEEhLm2ESA_iEENS5_INS6_IS9_iLm3ESA_iEENSD_ILm4EiEEiLm4ESA_iEE.private_seg_size, 0
	.set _ZN2at6native31matrix_to_m16n8k16_Bint4_layoutILi4EEEvN5torch10headeronly6detail27GenericPackedTensorAccessorINS4_14TensorAccessorIN3c108ArrayRefIlEEhLm1ENS3_17RestrictPtrTraitsEiEENS_6detail16IndexBoundsCheckILm2EiEEhLm2ESA_iEENS5_INS6_IS9_iLm3ESA_iEENSD_ILm4EiEEiLm4ESA_iEE.uses_vcc, 1
	.set _ZN2at6native31matrix_to_m16n8k16_Bint4_layoutILi4EEEvN5torch10headeronly6detail27GenericPackedTensorAccessorINS4_14TensorAccessorIN3c108ArrayRefIlEEhLm1ENS3_17RestrictPtrTraitsEiEENS_6detail16IndexBoundsCheckILm2EiEEhLm2ESA_iEENS5_INS6_IS9_iLm3ESA_iEENSD_ILm4EiEEiLm4ESA_iEE.uses_flat_scratch, 0
	.set _ZN2at6native31matrix_to_m16n8k16_Bint4_layoutILi4EEEvN5torch10headeronly6detail27GenericPackedTensorAccessorINS4_14TensorAccessorIN3c108ArrayRefIlEEhLm1ENS3_17RestrictPtrTraitsEiEENS_6detail16IndexBoundsCheckILm2EiEEhLm2ESA_iEENS5_INS6_IS9_iLm3ESA_iEENSD_ILm4EiEEiLm4ESA_iEE.has_dyn_sized_stack, 0
	.set _ZN2at6native31matrix_to_m16n8k16_Bint4_layoutILi4EEEvN5torch10headeronly6detail27GenericPackedTensorAccessorINS4_14TensorAccessorIN3c108ArrayRefIlEEhLm1ENS3_17RestrictPtrTraitsEiEENS_6detail16IndexBoundsCheckILm2EiEEhLm2ESA_iEENS5_INS6_IS9_iLm3ESA_iEENSD_ILm4EiEEiLm4ESA_iEE.has_recursion, 0
	.set _ZN2at6native31matrix_to_m16n8k16_Bint4_layoutILi4EEEvN5torch10headeronly6detail27GenericPackedTensorAccessorINS4_14TensorAccessorIN3c108ArrayRefIlEEhLm1ENS3_17RestrictPtrTraitsEiEENS_6detail16IndexBoundsCheckILm2EiEEhLm2ESA_iEENS5_INS6_IS9_iLm3ESA_iEENSD_ILm4EiEEiLm4ESA_iEE.has_indirect_call, 0
	.section	.AMDGPU.csdata,"",@progbits
; Kernel info:
; codeLenInByte = 1004
; TotalNumSgprs: 14
; NumVgprs: 14
; ScratchSize: 0
; MemoryBound: 0
; FloatMode: 240
; IeeeMode: 1
; LDSByteSize: 0 bytes/workgroup (compile time only)
; SGPRBlocks: 0
; VGPRBlocks: 0
; NumSGPRsForWavesPerEU: 14
; NumVGPRsForWavesPerEU: 14
; NamedBarCnt: 0
; Occupancy: 16
; WaveLimiterHint : 0
; COMPUTE_PGM_RSRC2:SCRATCH_EN: 0
; COMPUTE_PGM_RSRC2:USER_SGPR: 2
; COMPUTE_PGM_RSRC2:TRAP_HANDLER: 0
; COMPUTE_PGM_RSRC2:TGID_X_EN: 1
; COMPUTE_PGM_RSRC2:TGID_Y_EN: 1
; COMPUTE_PGM_RSRC2:TGID_Z_EN: 0
; COMPUTE_PGM_RSRC2:TIDIG_COMP_CNT: 0
	.section	.text._ZN2at6native31matrix_to_m16n8k16_Bint4_layoutILi8EEEvN5torch10headeronly6detail27GenericPackedTensorAccessorINS4_14TensorAccessorIN3c108ArrayRefIlEEhLm1ENS3_17RestrictPtrTraitsEiEENS_6detail16IndexBoundsCheckILm2EiEEhLm2ESA_iEENS5_INS6_IS9_iLm3ESA_iEENSD_ILm4EiEEiLm4ESA_iEE,"axG",@progbits,_ZN2at6native31matrix_to_m16n8k16_Bint4_layoutILi8EEEvN5torch10headeronly6detail27GenericPackedTensorAccessorINS4_14TensorAccessorIN3c108ArrayRefIlEEhLm1ENS3_17RestrictPtrTraitsEiEENS_6detail16IndexBoundsCheckILm2EiEEhLm2ESA_iEENS5_INS6_IS9_iLm3ESA_iEENSD_ILm4EiEEiLm4ESA_iEE,comdat
	.protected	_ZN2at6native31matrix_to_m16n8k16_Bint4_layoutILi8EEEvN5torch10headeronly6detail27GenericPackedTensorAccessorINS4_14TensorAccessorIN3c108ArrayRefIlEEhLm1ENS3_17RestrictPtrTraitsEiEENS_6detail16IndexBoundsCheckILm2EiEEhLm2ESA_iEENS5_INS6_IS9_iLm3ESA_iEENSD_ILm4EiEEiLm4ESA_iEE ; -- Begin function _ZN2at6native31matrix_to_m16n8k16_Bint4_layoutILi8EEEvN5torch10headeronly6detail27GenericPackedTensorAccessorINS4_14TensorAccessorIN3c108ArrayRefIlEEhLm1ENS3_17RestrictPtrTraitsEiEENS_6detail16IndexBoundsCheckILm2EiEEhLm2ESA_iEENS5_INS6_IS9_iLm3ESA_iEENSD_ILm4EiEEiLm4ESA_iEE
	.globl	_ZN2at6native31matrix_to_m16n8k16_Bint4_layoutILi8EEEvN5torch10headeronly6detail27GenericPackedTensorAccessorINS4_14TensorAccessorIN3c108ArrayRefIlEEhLm1ENS3_17RestrictPtrTraitsEiEENS_6detail16IndexBoundsCheckILm2EiEEhLm2ESA_iEENS5_INS6_IS9_iLm3ESA_iEENSD_ILm4EiEEiLm4ESA_iEE
	.p2align	8
	.type	_ZN2at6native31matrix_to_m16n8k16_Bint4_layoutILi8EEEvN5torch10headeronly6detail27GenericPackedTensorAccessorINS4_14TensorAccessorIN3c108ArrayRefIlEEhLm1ENS3_17RestrictPtrTraitsEiEENS_6detail16IndexBoundsCheckILm2EiEEhLm2ESA_iEENS5_INS6_IS9_iLm3ESA_iEENSD_ILm4EiEEiLm4ESA_iEE,@function
_ZN2at6native31matrix_to_m16n8k16_Bint4_layoutILi8EEEvN5torch10headeronly6detail27GenericPackedTensorAccessorINS4_14TensorAccessorIN3c108ArrayRefIlEEhLm1ENS3_17RestrictPtrTraitsEiEENS_6detail16IndexBoundsCheckILm2EiEEhLm2ESA_iEENS5_INS6_IS9_iLm3ESA_iEENSD_ILm4EiEEiLm4ESA_iEE: ; @_ZN2at6native31matrix_to_m16n8k16_Bint4_layoutILi8EEEvN5torch10headeronly6detail27GenericPackedTensorAccessorINS4_14TensorAccessorIN3c108ArrayRefIlEEhLm1ENS3_17RestrictPtrTraitsEiEENS_6detail16IndexBoundsCheckILm2EiEEhLm2ESA_iEENS5_INS6_IS9_iLm3ESA_iEENSD_ILm4EiEEiLm4ESA_iEE
; %bb.0:
	s_clause 0x1
	s_load_b96 s[4:6], s[0:1], 0x8
	s_load_b64 s[10:11], s[0:1], 0x0
	s_bfe_u32 s3, ttmp6, 0x4000c
	s_bfe_u32 s7, ttmp6, 0x40010
	s_add_co_i32 s3, s3, 1
	s_add_co_i32 s7, s7, 1
	s_and_b32 s2, ttmp6, 15
	s_mul_i32 s3, ttmp9, s3
	s_mul_i32 s7, ttmp7, s7
	s_bfe_u32 s8, ttmp6, 0x40004
	s_add_co_i32 s2, s2, s3
	s_getreg_b32 s3, hwreg(HW_REG_IB_STS2, 6, 4)
	s_add_co_i32 s8, s8, s7
	v_dual_lshrrev_b32 v3, 3, v0 :: v_dual_bitop2_b32 v1, 15, v0 bitop3:0x40
	s_cmp_eq_u32 s3, 0
	v_mov_b32_e32 v8, 0
	s_cselect_b32 s8, ttmp7, s8
	s_cselect_b32 s3, ttmp9, s2
	v_lshl_or_b32 v1, s8, 4, v1
	v_and_b32_e32 v3, 0x7e, v3
	s_lshl_b32 s2, s3, 6
	s_delay_alu instid0(SALU_CYCLE_1) | instskip(SKIP_4) | instid1(VALU_DEP_3)
	s_and_b32 s2, s2, 0x7fffffc0
	s_wait_kmcnt 0x0
	v_mul_lo_u32 v2, s6, v1
	v_add_nc_u32_e32 v4, s2, v3
	v_cmp_gt_u32_e32 vcc_lo, s4, v1
	v_ashrrev_i32_e32 v3, 31, v2
	s_delay_alu instid0(VALU_DEP_3) | instskip(SKIP_1) | instid1(VALU_DEP_3)
	v_cmp_gt_i32_e64 s2, s5, v4
	v_dual_mov_b32 v9, 0 :: v_dual_ashrrev_i32 v5, 31, v4
	v_add_nc_u64_e32 v[2:3], s[10:11], v[2:3]
	s_and_b32 s4, vcc_lo, s2
	s_delay_alu instid0(SALU_CYCLE_1)
	s_and_saveexec_b32 s2, s4
	s_cbranch_execz .LBB14_2
; %bb.1:
	s_delay_alu instid0(VALU_DEP_1)
	v_add_nc_u64_e32 v[6:7], v[2:3], v[4:5]
	global_load_u8 v8, v[6:7], off
.LBB14_2:
	s_wait_xcnt 0x0
	s_or_b32 exec_lo, exec_lo, s2
	v_dual_mov_b32 v10, 0 :: v_dual_bitop2_b32 v1, 1, v4 bitop3:0x54
	s_delay_alu instid0(VALU_DEP_1) | instskip(SKIP_1) | instid1(SALU_CYCLE_1)
	v_cmp_gt_i32_e64 s2, s5, v1
	s_and_b32 s4, vcc_lo, s2
	s_and_saveexec_b32 s2, s4
	s_cbranch_execz .LBB14_4
; %bb.3:
	v_add_nc_u64_e32 v[6:7], v[2:3], v[4:5]
	global_load_u8 v10, v[6:7], off offset:1
.LBB14_4:
	s_wait_xcnt 0x0
	s_or_b32 exec_lo, exec_lo, s2
	s_load_b64 s[6:7], s[0:1], 0x18
	v_add_nc_u32_e32 v6, 8, v4
	s_delay_alu instid0(VALU_DEP_1) | instskip(SKIP_2) | instid1(SALU_CYCLE_1)
	v_cmp_gt_i32_e64 s2, s5, v6
	v_ashrrev_i32_e32 v7, 31, v6
	s_and_b32 s4, vcc_lo, s2
	s_and_saveexec_b32 s2, s4
	s_cbranch_execz .LBB14_6
; %bb.5:
	s_delay_alu instid0(VALU_DEP_1)
	v_add_nc_u64_e32 v[12:13], v[2:3], v[6:7]
	global_load_u8 v9, v[12:13], off
.LBB14_6:
	s_wait_xcnt 0x0
	s_or_b32 exec_lo, exec_lo, s2
	s_load_b32 s1, s[0:1], 0x24
	v_dual_mov_b32 v5, 0 :: v_dual_bitop2_b32 v1, 1, v6 bitop3:0x54
	s_wait_xcnt 0x0
	s_delay_alu instid0(VALU_DEP_1) | instskip(SKIP_2) | instid1(SALU_CYCLE_1)
	v_cmp_gt_i32_e64 s0, s5, v1
	v_mov_b32_e32 v1, 0
	s_and_b32 s2, vcc_lo, s0
	s_and_saveexec_b32 s0, s2
	s_cbranch_execz .LBB14_8
; %bb.7:
	v_add_nc_u64_e32 v[6:7], v[2:3], v[6:7]
	global_load_u8 v5, v[6:7], off offset:1
.LBB14_8:
	s_wait_xcnt 0x0
	s_or_b32 exec_lo, exec_lo, s0
	s_wait_loadcnt 0x0
	v_dual_lshlrev_b32 v6, 28, v5 :: v_dual_lshlrev_b32 v11, 20, v10
	v_dual_lshlrev_b32 v7, 24, v9 :: v_dual_lshlrev_b32 v12, 16, v8
	;; [unrolled: 1-line block ×3, first 2 shown]
	v_dual_lshlrev_b32 v9, 4, v9 :: v_dual_lshrrev_b32 v8, 4, v8
	s_delay_alu instid0(VALU_DEP_3)
	v_and_or_b32 v6, 0xf000000, v7, v6
	v_and_b32_e32 v7, 0xf00000, v11
	v_and_b32_e32 v11, 0xf0000, v12
	;; [unrolled: 1-line block ×4, first 2 shown]
	s_wait_kmcnt 0x0
	s_mul_i32 s0, s1, s8
	v_or3_b32 v6, v6, v7, v11
	v_and_b32_e32 v7, 0xf0, v10
	s_add_co_i32 s0, s0, s3
	s_delay_alu instid0(SALU_CYCLE_1) | instskip(NEXT) | instid1(VALU_DEP_3)
	v_lshl_add_u32 v0, s0, 8, v0
	v_or3_b32 v5, v6, v5, v9
	v_add_nc_u32_e32 v6, 16, v4
	s_delay_alu instid0(VALU_DEP_2) | instskip(SKIP_1) | instid1(VALU_DEP_3)
	v_or3_b32 v5, v5, v7, v8
	v_mov_b32_e32 v8, 0
	v_cmp_gt_i32_e64 s0, s5, v6
	v_ashrrev_i32_e32 v7, 31, v6
	global_store_b32 v0, v5, s[6:7] scale_offset
	s_and_b32 s1, vcc_lo, s0
	s_wait_xcnt 0x0
	s_and_saveexec_b32 s0, s1
	s_cbranch_execz .LBB14_10
; %bb.9:
	v_add_nc_u64_e32 v[8:9], v[2:3], v[6:7]
	global_load_u8 v8, v[8:9], off
.LBB14_10:
	s_wait_xcnt 0x0
	s_or_b32 exec_lo, exec_lo, s0
	v_dual_mov_b32 v10, 0 :: v_dual_bitop2_b32 v5, 1, v6 bitop3:0x54
	v_mov_b32_e32 v9, 0
	s_delay_alu instid0(VALU_DEP_2) | instskip(SKIP_1) | instid1(SALU_CYCLE_1)
	v_cmp_gt_i32_e64 s0, s5, v5
	s_and_b32 s1, vcc_lo, s0
	s_and_saveexec_b32 s0, s1
	s_cbranch_execz .LBB14_12
; %bb.11:
	v_add_nc_u64_e32 v[6:7], v[2:3], v[6:7]
	global_load_u8 v9, v[6:7], off offset:1
.LBB14_12:
	s_wait_xcnt 0x0
	s_or_b32 exec_lo, exec_lo, s0
	v_add_nc_u32_e32 v6, 24, v4
	s_delay_alu instid0(VALU_DEP_1) | instskip(SKIP_2) | instid1(SALU_CYCLE_1)
	v_cmp_gt_i32_e64 s0, s5, v6
	v_ashrrev_i32_e32 v7, 31, v6
	s_and_b32 s1, vcc_lo, s0
	s_and_saveexec_b32 s0, s1
	s_cbranch_execz .LBB14_14
; %bb.13:
	s_delay_alu instid0(VALU_DEP_1)
	v_add_nc_u64_e32 v[10:11], v[2:3], v[6:7]
	global_load_u8 v10, v[10:11], off
.LBB14_14:
	s_wait_xcnt 0x0
	s_or_b32 exec_lo, exec_lo, s0
	v_dual_mov_b32 v11, 0 :: v_dual_bitop2_b32 v5, 1, v6 bitop3:0x54
	v_lshl_add_u64 v[0:1], v[0:1], 2, s[6:7]
	s_delay_alu instid0(VALU_DEP_2) | instskip(SKIP_2) | instid1(SALU_CYCLE_1)
	v_cmp_gt_i32_e64 s0, s5, v5
	v_mov_b32_e32 v5, 0
	s_and_b32 s1, vcc_lo, s0
	s_and_saveexec_b32 s0, s1
	s_cbranch_execz .LBB14_16
; %bb.15:
	v_add_nc_u64_e32 v[6:7], v[2:3], v[6:7]
	global_load_u8 v11, v[6:7], off offset:1
.LBB14_16:
	s_wait_xcnt 0x0
	s_or_b32 exec_lo, exec_lo, s0
	s_wait_loadcnt 0x0
	v_dual_lshlrev_b32 v6, 28, v11 :: v_dual_lshlrev_b32 v7, 24, v10
	v_dual_lshlrev_b32 v12, 20, v9 :: v_dual_lshlrev_b32 v13, 16, v8
	v_dual_lshlrev_b32 v11, 8, v11 :: v_dual_lshlrev_b32 v10, 4, v10
	s_delay_alu instid0(VALU_DEP_3) | instskip(NEXT) | instid1(VALU_DEP_3)
	v_and_or_b32 v6, 0xf000000, v7, v6
	v_and_b32_e32 v7, 0xf00000, v12
	s_delay_alu instid0(VALU_DEP_4) | instskip(NEXT) | instid1(VALU_DEP_4)
	v_and_b32_e32 v12, 0xf0000, v13
	v_and_b32_e32 v11, 0xf000, v11
	;; [unrolled: 1-line block ×4, first 2 shown]
	s_delay_alu instid0(VALU_DEP_4) | instskip(SKIP_2) | instid1(VALU_DEP_3)
	v_or3_b32 v7, v6, v7, v12
	v_add_nc_u32_e32 v6, 32, v4
	v_lshrrev_b32_e32 v8, 4, v8
	v_or3_b32 v7, v7, v11, v10
	s_delay_alu instid0(VALU_DEP_3) | instskip(NEXT) | instid1(VALU_DEP_2)
	v_cmp_gt_i32_e64 s0, s5, v6
	v_or3_b32 v8, v7, v9, v8
	v_ashrrev_i32_e32 v7, 31, v6
	s_and_b32 s1, vcc_lo, s0
	global_store_b32 v[0:1], v8, off offset:4
	s_wait_xcnt 0x0
	s_and_saveexec_b32 s0, s1
	s_cbranch_execz .LBB14_18
; %bb.17:
	v_add_nc_u64_e32 v[8:9], v[2:3], v[6:7]
	global_load_u8 v5, v[8:9], off
.LBB14_18:
	s_wait_xcnt 0x0
	s_or_b32 exec_lo, exec_lo, s0
	v_dual_mov_b32 v10, 0 :: v_dual_bitop2_b32 v8, 1, v6 bitop3:0x54
	v_mov_b32_e32 v9, 0
	s_delay_alu instid0(VALU_DEP_2) | instskip(SKIP_1) | instid1(SALU_CYCLE_1)
	v_cmp_gt_i32_e64 s0, s5, v8
	s_and_b32 s1, vcc_lo, s0
	s_and_saveexec_b32 s0, s1
	s_cbranch_execz .LBB14_20
; %bb.19:
	v_add_nc_u64_e32 v[6:7], v[2:3], v[6:7]
	global_load_u8 v9, v[6:7], off offset:1
.LBB14_20:
	s_wait_xcnt 0x0
	s_or_b32 exec_lo, exec_lo, s0
	v_add_nc_u32_e32 v6, 40, v4
	s_delay_alu instid0(VALU_DEP_1) | instskip(SKIP_2) | instid1(SALU_CYCLE_1)
	v_cmp_gt_i32_e64 s0, s5, v6
	v_ashrrev_i32_e32 v7, 31, v6
	s_and_b32 s1, vcc_lo, s0
	s_and_saveexec_b32 s0, s1
	s_cbranch_execz .LBB14_22
; %bb.21:
	s_delay_alu instid0(VALU_DEP_1)
	v_add_nc_u64_e32 v[10:11], v[2:3], v[6:7]
	global_load_u8 v10, v[10:11], off
.LBB14_22:
	s_wait_xcnt 0x0
	s_or_b32 exec_lo, exec_lo, s0
	v_dual_mov_b32 v11, 0 :: v_dual_bitop2_b32 v8, 1, v6 bitop3:0x54
	s_delay_alu instid0(VALU_DEP_1) | instskip(SKIP_2) | instid1(SALU_CYCLE_1)
	v_cmp_gt_i32_e64 s0, s5, v8
	v_mov_b32_e32 v8, 0
	s_and_b32 s1, vcc_lo, s0
	s_and_saveexec_b32 s0, s1
	s_cbranch_execz .LBB14_24
; %bb.23:
	v_add_nc_u64_e32 v[6:7], v[2:3], v[6:7]
	global_load_u8 v11, v[6:7], off offset:1
.LBB14_24:
	s_wait_xcnt 0x0
	s_or_b32 exec_lo, exec_lo, s0
	s_wait_loadcnt 0x0
	v_dual_lshlrev_b32 v6, 28, v11 :: v_dual_lshlrev_b32 v7, 24, v10
	v_dual_lshlrev_b32 v12, 20, v9 :: v_dual_lshlrev_b32 v11, 8, v11
	;; [unrolled: 1-line block ×3, first 2 shown]
	s_delay_alu instid0(VALU_DEP_3) | instskip(NEXT) | instid1(VALU_DEP_3)
	v_and_or_b32 v6, 0xf000000, v7, v6
	v_and_b32_e32 v7, 0xf00000, v12
	s_delay_alu instid0(VALU_DEP_4) | instskip(NEXT) | instid1(VALU_DEP_4)
	v_and_b32_e32 v11, 0xf000, v11
	v_and_b32_e32 v12, 0xf0000, v13
	;; [unrolled: 1-line block ×4, first 2 shown]
	v_lshrrev_b32_e32 v5, 4, v5
	s_delay_alu instid0(VALU_DEP_4) | instskip(SKIP_1) | instid1(VALU_DEP_2)
	v_or3_b32 v7, v6, v7, v12
	v_add_nc_u32_e32 v6, 48, v4
	v_or3_b32 v7, v7, v11, v10
	s_delay_alu instid0(VALU_DEP_2) | instskip(NEXT) | instid1(VALU_DEP_2)
	v_cmp_gt_i32_e64 s0, s5, v6
	v_or3_b32 v5, v7, v9, v5
	v_ashrrev_i32_e32 v7, 31, v6
	s_and_b32 s1, vcc_lo, s0
	global_store_b32 v[0:1], v5, off offset:8
	s_wait_xcnt 0x0
	s_and_saveexec_b32 s0, s1
	s_cbranch_execz .LBB14_26
; %bb.25:
	v_add_nc_u64_e32 v[8:9], v[2:3], v[6:7]
	global_load_u8 v8, v[8:9], off
.LBB14_26:
	s_wait_xcnt 0x0
	s_or_b32 exec_lo, exec_lo, s0
	v_dual_mov_b32 v10, 0 :: v_dual_bitop2_b32 v5, 1, v6 bitop3:0x54
	v_mov_b32_e32 v9, 0
	s_delay_alu instid0(VALU_DEP_2) | instskip(SKIP_1) | instid1(SALU_CYCLE_1)
	v_cmp_gt_i32_e64 s0, s5, v5
	s_and_b32 s1, vcc_lo, s0
	s_and_saveexec_b32 s0, s1
	s_cbranch_execz .LBB14_28
; %bb.27:
	v_add_nc_u64_e32 v[6:7], v[2:3], v[6:7]
	global_load_u8 v9, v[6:7], off offset:1
.LBB14_28:
	s_wait_xcnt 0x0
	s_or_b32 exec_lo, exec_lo, s0
	v_add_nc_u32_e32 v4, 56, v4
	s_delay_alu instid0(VALU_DEP_1) | instskip(SKIP_2) | instid1(SALU_CYCLE_1)
	v_cmp_gt_i32_e64 s0, s5, v4
	v_ashrrev_i32_e32 v5, 31, v4
	s_and_b32 s1, vcc_lo, s0
	s_and_saveexec_b32 s0, s1
	s_cbranch_execz .LBB14_30
; %bb.29:
	s_delay_alu instid0(VALU_DEP_1)
	v_add_nc_u64_e32 v[6:7], v[2:3], v[4:5]
	global_load_u8 v10, v[6:7], off
.LBB14_30:
	s_wait_xcnt 0x0
	s_or_b32 exec_lo, exec_lo, s0
	v_or_b32_e32 v6, 1, v4
	s_delay_alu instid0(VALU_DEP_1) | instskip(SKIP_2) | instid1(SALU_CYCLE_1)
	v_cmp_gt_i32_e64 s0, s5, v6
	v_mov_b32_e32 v6, 0
	s_and_b32 s1, vcc_lo, s0
	s_and_saveexec_b32 s0, s1
	s_cbranch_execz .LBB14_32
; %bb.31:
	v_add_nc_u64_e32 v[2:3], v[2:3], v[4:5]
	global_load_u8 v6, v[2:3], off offset:1
.LBB14_32:
	s_wait_xcnt 0x0
	s_or_b32 exec_lo, exec_lo, s0
	s_wait_loadcnt 0x0
	v_dual_lshlrev_b32 v2, 28, v6 :: v_dual_lshlrev_b32 v4, 20, v9
	v_dual_lshlrev_b32 v3, 24, v10 :: v_dual_lshlrev_b32 v5, 16, v8
	s_delay_alu instid0(VALU_DEP_1) | instskip(NEXT) | instid1(VALU_DEP_3)
	v_and_or_b32 v2, 0xf000000, v3, v2
	v_and_b32_e32 v3, 0xf00000, v4
	v_lshlrev_b32_e32 v4, 8, v6
	v_lshlrev_b32_e32 v6, 4, v10
	v_and_b32_e32 v5, 0xf0000, v5
	s_delay_alu instid0(VALU_DEP_3) | instskip(NEXT) | instid1(VALU_DEP_3)
	v_and_b32_e32 v4, 0xf000, v4
	v_and_b32_e32 v6, 0xf00, v6
	s_delay_alu instid0(VALU_DEP_3) | instskip(SKIP_1) | instid1(VALU_DEP_2)
	v_or3_b32 v2, v2, v3, v5
	v_and_b32_e32 v3, 0xf0, v9
	v_or3_b32 v2, v2, v4, v6
	v_lshrrev_b32_e32 v4, 4, v8
	s_delay_alu instid0(VALU_DEP_1)
	v_or3_b32 v2, v2, v3, v4
	global_store_b32 v[0:1], v2, off offset:12
	s_endpgm
	.section	.rodata,"a",@progbits
	.p2align	6, 0x0
	.amdhsa_kernel _ZN2at6native31matrix_to_m16n8k16_Bint4_layoutILi8EEEvN5torch10headeronly6detail27GenericPackedTensorAccessorINS4_14TensorAccessorIN3c108ArrayRefIlEEhLm1ENS3_17RestrictPtrTraitsEiEENS_6detail16IndexBoundsCheckILm2EiEEhLm2ESA_iEENS5_INS6_IS9_iLm3ESA_iEENSD_ILm4EiEEiLm4ESA_iEE
		.amdhsa_group_segment_fixed_size 0
		.amdhsa_private_segment_fixed_size 0
		.amdhsa_kernarg_size 64
		.amdhsa_user_sgpr_count 2
		.amdhsa_user_sgpr_dispatch_ptr 0
		.amdhsa_user_sgpr_queue_ptr 0
		.amdhsa_user_sgpr_kernarg_segment_ptr 1
		.amdhsa_user_sgpr_dispatch_id 0
		.amdhsa_user_sgpr_kernarg_preload_length 0
		.amdhsa_user_sgpr_kernarg_preload_offset 0
		.amdhsa_user_sgpr_private_segment_size 0
		.amdhsa_wavefront_size32 1
		.amdhsa_uses_dynamic_stack 0
		.amdhsa_enable_private_segment 0
		.amdhsa_system_sgpr_workgroup_id_x 1
		.amdhsa_system_sgpr_workgroup_id_y 1
		.amdhsa_system_sgpr_workgroup_id_z 0
		.amdhsa_system_sgpr_workgroup_info 0
		.amdhsa_system_vgpr_workitem_id 0
		.amdhsa_next_free_vgpr 14
		.amdhsa_next_free_sgpr 12
		.amdhsa_named_barrier_count 0
		.amdhsa_reserve_vcc 1
		.amdhsa_float_round_mode_32 0
		.amdhsa_float_round_mode_16_64 0
		.amdhsa_float_denorm_mode_32 3
		.amdhsa_float_denorm_mode_16_64 3
		.amdhsa_fp16_overflow 0
		.amdhsa_memory_ordered 1
		.amdhsa_forward_progress 1
		.amdhsa_inst_pref_size 14
		.amdhsa_round_robin_scheduling 0
		.amdhsa_exception_fp_ieee_invalid_op 0
		.amdhsa_exception_fp_denorm_src 0
		.amdhsa_exception_fp_ieee_div_zero 0
		.amdhsa_exception_fp_ieee_overflow 0
		.amdhsa_exception_fp_ieee_underflow 0
		.amdhsa_exception_fp_ieee_inexact 0
		.amdhsa_exception_int_div_zero 0
	.end_amdhsa_kernel
	.section	.text._ZN2at6native31matrix_to_m16n8k16_Bint4_layoutILi8EEEvN5torch10headeronly6detail27GenericPackedTensorAccessorINS4_14TensorAccessorIN3c108ArrayRefIlEEhLm1ENS3_17RestrictPtrTraitsEiEENS_6detail16IndexBoundsCheckILm2EiEEhLm2ESA_iEENS5_INS6_IS9_iLm3ESA_iEENSD_ILm4EiEEiLm4ESA_iEE,"axG",@progbits,_ZN2at6native31matrix_to_m16n8k16_Bint4_layoutILi8EEEvN5torch10headeronly6detail27GenericPackedTensorAccessorINS4_14TensorAccessorIN3c108ArrayRefIlEEhLm1ENS3_17RestrictPtrTraitsEiEENS_6detail16IndexBoundsCheckILm2EiEEhLm2ESA_iEENS5_INS6_IS9_iLm3ESA_iEENSD_ILm4EiEEiLm4ESA_iEE,comdat
.Lfunc_end14:
	.size	_ZN2at6native31matrix_to_m16n8k16_Bint4_layoutILi8EEEvN5torch10headeronly6detail27GenericPackedTensorAccessorINS4_14TensorAccessorIN3c108ArrayRefIlEEhLm1ENS3_17RestrictPtrTraitsEiEENS_6detail16IndexBoundsCheckILm2EiEEhLm2ESA_iEENS5_INS6_IS9_iLm3ESA_iEENSD_ILm4EiEEiLm4ESA_iEE, .Lfunc_end14-_ZN2at6native31matrix_to_m16n8k16_Bint4_layoutILi8EEEvN5torch10headeronly6detail27GenericPackedTensorAccessorINS4_14TensorAccessorIN3c108ArrayRefIlEEhLm1ENS3_17RestrictPtrTraitsEiEENS_6detail16IndexBoundsCheckILm2EiEEhLm2ESA_iEENS5_INS6_IS9_iLm3ESA_iEENSD_ILm4EiEEiLm4ESA_iEE
                                        ; -- End function
	.set _ZN2at6native31matrix_to_m16n8k16_Bint4_layoutILi8EEEvN5torch10headeronly6detail27GenericPackedTensorAccessorINS4_14TensorAccessorIN3c108ArrayRefIlEEhLm1ENS3_17RestrictPtrTraitsEiEENS_6detail16IndexBoundsCheckILm2EiEEhLm2ESA_iEENS5_INS6_IS9_iLm3ESA_iEENSD_ILm4EiEEiLm4ESA_iEE.num_vgpr, 14
	.set _ZN2at6native31matrix_to_m16n8k16_Bint4_layoutILi8EEEvN5torch10headeronly6detail27GenericPackedTensorAccessorINS4_14TensorAccessorIN3c108ArrayRefIlEEhLm1ENS3_17RestrictPtrTraitsEiEENS_6detail16IndexBoundsCheckILm2EiEEhLm2ESA_iEENS5_INS6_IS9_iLm3ESA_iEENSD_ILm4EiEEiLm4ESA_iEE.num_agpr, 0
	.set _ZN2at6native31matrix_to_m16n8k16_Bint4_layoutILi8EEEvN5torch10headeronly6detail27GenericPackedTensorAccessorINS4_14TensorAccessorIN3c108ArrayRefIlEEhLm1ENS3_17RestrictPtrTraitsEiEENS_6detail16IndexBoundsCheckILm2EiEEhLm2ESA_iEENS5_INS6_IS9_iLm3ESA_iEENSD_ILm4EiEEiLm4ESA_iEE.numbered_sgpr, 12
	.set _ZN2at6native31matrix_to_m16n8k16_Bint4_layoutILi8EEEvN5torch10headeronly6detail27GenericPackedTensorAccessorINS4_14TensorAccessorIN3c108ArrayRefIlEEhLm1ENS3_17RestrictPtrTraitsEiEENS_6detail16IndexBoundsCheckILm2EiEEhLm2ESA_iEENS5_INS6_IS9_iLm3ESA_iEENSD_ILm4EiEEiLm4ESA_iEE.num_named_barrier, 0
	.set _ZN2at6native31matrix_to_m16n8k16_Bint4_layoutILi8EEEvN5torch10headeronly6detail27GenericPackedTensorAccessorINS4_14TensorAccessorIN3c108ArrayRefIlEEhLm1ENS3_17RestrictPtrTraitsEiEENS_6detail16IndexBoundsCheckILm2EiEEhLm2ESA_iEENS5_INS6_IS9_iLm3ESA_iEENSD_ILm4EiEEiLm4ESA_iEE.private_seg_size, 0
	.set _ZN2at6native31matrix_to_m16n8k16_Bint4_layoutILi8EEEvN5torch10headeronly6detail27GenericPackedTensorAccessorINS4_14TensorAccessorIN3c108ArrayRefIlEEhLm1ENS3_17RestrictPtrTraitsEiEENS_6detail16IndexBoundsCheckILm2EiEEhLm2ESA_iEENS5_INS6_IS9_iLm3ESA_iEENSD_ILm4EiEEiLm4ESA_iEE.uses_vcc, 1
	.set _ZN2at6native31matrix_to_m16n8k16_Bint4_layoutILi8EEEvN5torch10headeronly6detail27GenericPackedTensorAccessorINS4_14TensorAccessorIN3c108ArrayRefIlEEhLm1ENS3_17RestrictPtrTraitsEiEENS_6detail16IndexBoundsCheckILm2EiEEhLm2ESA_iEENS5_INS6_IS9_iLm3ESA_iEENSD_ILm4EiEEiLm4ESA_iEE.uses_flat_scratch, 0
	.set _ZN2at6native31matrix_to_m16n8k16_Bint4_layoutILi8EEEvN5torch10headeronly6detail27GenericPackedTensorAccessorINS4_14TensorAccessorIN3c108ArrayRefIlEEhLm1ENS3_17RestrictPtrTraitsEiEENS_6detail16IndexBoundsCheckILm2EiEEhLm2ESA_iEENS5_INS6_IS9_iLm3ESA_iEENSD_ILm4EiEEiLm4ESA_iEE.has_dyn_sized_stack, 0
	.set _ZN2at6native31matrix_to_m16n8k16_Bint4_layoutILi8EEEvN5torch10headeronly6detail27GenericPackedTensorAccessorINS4_14TensorAccessorIN3c108ArrayRefIlEEhLm1ENS3_17RestrictPtrTraitsEiEENS_6detail16IndexBoundsCheckILm2EiEEhLm2ESA_iEENS5_INS6_IS9_iLm3ESA_iEENSD_ILm4EiEEiLm4ESA_iEE.has_recursion, 0
	.set _ZN2at6native31matrix_to_m16n8k16_Bint4_layoutILi8EEEvN5torch10headeronly6detail27GenericPackedTensorAccessorINS4_14TensorAccessorIN3c108ArrayRefIlEEhLm1ENS3_17RestrictPtrTraitsEiEENS_6detail16IndexBoundsCheckILm2EiEEhLm2ESA_iEENS5_INS6_IS9_iLm3ESA_iEENSD_ILm4EiEEiLm4ESA_iEE.has_indirect_call, 0
	.section	.AMDGPU.csdata,"",@progbits
; Kernel info:
; codeLenInByte = 1788
; TotalNumSgprs: 14
; NumVgprs: 14
; ScratchSize: 0
; MemoryBound: 0
; FloatMode: 240
; IeeeMode: 1
; LDSByteSize: 0 bytes/workgroup (compile time only)
; SGPRBlocks: 0
; VGPRBlocks: 0
; NumSGPRsForWavesPerEU: 14
; NumVGPRsForWavesPerEU: 14
; NamedBarCnt: 0
; Occupancy: 16
; WaveLimiterHint : 0
; COMPUTE_PGM_RSRC2:SCRATCH_EN: 0
; COMPUTE_PGM_RSRC2:USER_SGPR: 2
; COMPUTE_PGM_RSRC2:TRAP_HANDLER: 0
; COMPUTE_PGM_RSRC2:TGID_X_EN: 1
; COMPUTE_PGM_RSRC2:TGID_Y_EN: 1
; COMPUTE_PGM_RSRC2:TGID_Z_EN: 0
; COMPUTE_PGM_RSRC2:TIDIG_COMP_CNT: 0
	.section	.AMDGPU.gpr_maximums,"",@progbits
	.set amdgpu.max_num_vgpr, 0
	.set amdgpu.max_num_agpr, 0
	.set amdgpu.max_num_sgpr, 0
	.section	.AMDGPU.csdata,"",@progbits
	.type	.str,@object                    ; @.str
	.section	.rodata.str1.1,"aMS",@progbits,1
.str:
	.asciz	"__builtin_amdgcn_mfma_f32_16x16x16bf16_1k is only supported on AMD gpu arch greater than or equal to CDNA2\n"
	.size	.str, 108

	.type	__hip_cuid_da8e02389c8ec760,@object ; @__hip_cuid_da8e02389c8ec760
	.section	.bss,"aw",@nobits
	.globl	__hip_cuid_da8e02389c8ec760
__hip_cuid_da8e02389c8ec760:
	.byte	0                               ; 0x0
	.size	__hip_cuid_da8e02389c8ec760, 1

	.ident	"AMD clang version 22.0.0git (https://github.com/RadeonOpenCompute/llvm-project roc-7.2.4 26084 f58b06dce1f9c15707c5f808fd002e18c2accf7e)"
	.section	".note.GNU-stack","",@progbits
	.addrsig
	.addrsig_sym __hip_cuid_da8e02389c8ec760
	.amdgpu_metadata
---
amdhsa.kernels:
  - .args:
      - .actual_access:  read_only
        .address_space:  global
        .offset:         0
        .size:           8
        .value_kind:     global_buffer
      - .actual_access:  read_only
        .address_space:  global
        .offset:         8
        .size:           8
        .value_kind:     global_buffer
      - .actual_access:  read_only
        .address_space:  global
        .offset:         16
        .size:           8
        .value_kind:     global_buffer
      - .actual_access:  read_only
        .address_space:  global
        .offset:         24
        .size:           8
        .value_kind:     global_buffer
      - .offset:         32
        .size:           4
        .value_kind:     by_value
      - .offset:         36
        .size:           4
        .value_kind:     by_value
      - .offset:         40
        .size:           4
        .value_kind:     by_value
      - .offset:         44
        .size:           4
        .value_kind:     by_value
      - .offset:         48
        .size:           4
        .value_kind:     by_value
      - .offset:         52
        .size:           4
        .value_kind:     by_value
      - .offset:         56
        .size:           4
        .value_kind:     hidden_block_count_x
      - .offset:         60
        .size:           4
        .value_kind:     hidden_block_count_y
      - .offset:         64
        .size:           4
        .value_kind:     hidden_block_count_z
      - .offset:         68
        .size:           2
        .value_kind:     hidden_group_size_x
      - .offset:         70
        .size:           2
        .value_kind:     hidden_group_size_y
      - .offset:         72
        .size:           2
        .value_kind:     hidden_group_size_z
      - .offset:         74
        .size:           2
        .value_kind:     hidden_remainder_x
      - .offset:         76
        .size:           2
        .value_kind:     hidden_remainder_y
      - .offset:         78
        .size:           2
        .value_kind:     hidden_remainder_z
      - .offset:         96
        .size:           8
        .value_kind:     hidden_global_offset_x
      - .offset:         104
        .size:           8
        .value_kind:     hidden_global_offset_y
      - .offset:         112
        .size:           8
        .value_kind:     hidden_global_offset_z
      - .offset:         120
        .size:           2
        .value_kind:     hidden_grid_dims
      - .offset:         136
        .size:           8
        .value_kind:     hidden_hostcall_buffer
    .group_segment_fixed_size: 0
    .kernarg_segment_align: 8
    .kernarg_segment_size: 312
    .language:       OpenCL C
    .language_version:
      - 2
      - 0
    .max_flat_workgroup_size: 512
    .name:           _ZN2at6native30tinygemm_m16n8k16_chunk_kernelINS0_10ALayout_RMILNS0_14KReductionTypeE0EEENS0_15BLayout_TC_int4ILi2ELi32EEES4_Li8ELi8EEEvPKvS8_S8_Pviiiiii
    .private_segment_fixed_size: 0
    .sgpr_count:     20
    .sgpr_spill_count: 0
    .symbol:         _ZN2at6native30tinygemm_m16n8k16_chunk_kernelINS0_10ALayout_RMILNS0_14KReductionTypeE0EEENS0_15BLayout_TC_int4ILi2ELi32EEES4_Li8ELi8EEEvPKvS8_S8_Pviiiiii.kd
    .uniform_work_group_size: 1
    .uses_dynamic_stack: false
    .vgpr_count:     33
    .vgpr_spill_count: 0
    .wavefront_size: 32
  - .args:
      - .actual_access:  read_only
        .address_space:  global
        .offset:         0
        .size:           8
        .value_kind:     global_buffer
      - .actual_access:  read_only
        .address_space:  global
        .offset:         8
        .size:           8
        .value_kind:     global_buffer
      - .actual_access:  read_only
        .address_space:  global
        .offset:         16
        .size:           8
        .value_kind:     global_buffer
      - .actual_access:  read_only
        .address_space:  global
        .offset:         24
        .size:           8
        .value_kind:     global_buffer
      - .offset:         32
        .size:           4
        .value_kind:     by_value
      - .offset:         36
        .size:           4
        .value_kind:     by_value
      - .offset:         40
        .size:           4
        .value_kind:     by_value
      - .offset:         44
        .size:           4
        .value_kind:     by_value
      - .offset:         48
        .size:           4
        .value_kind:     by_value
      - .offset:         52
        .size:           4
        .value_kind:     by_value
      - .offset:         56
        .size:           4
        .value_kind:     hidden_block_count_x
      - .offset:         60
        .size:           4
        .value_kind:     hidden_block_count_y
      - .offset:         64
        .size:           4
        .value_kind:     hidden_block_count_z
      - .offset:         68
        .size:           2
        .value_kind:     hidden_group_size_x
      - .offset:         70
        .size:           2
        .value_kind:     hidden_group_size_y
      - .offset:         72
        .size:           2
        .value_kind:     hidden_group_size_z
      - .offset:         74
        .size:           2
        .value_kind:     hidden_remainder_x
      - .offset:         76
        .size:           2
        .value_kind:     hidden_remainder_y
      - .offset:         78
        .size:           2
        .value_kind:     hidden_remainder_z
      - .offset:         96
        .size:           8
        .value_kind:     hidden_global_offset_x
      - .offset:         104
        .size:           8
        .value_kind:     hidden_global_offset_y
      - .offset:         112
        .size:           8
        .value_kind:     hidden_global_offset_z
      - .offset:         120
        .size:           2
        .value_kind:     hidden_grid_dims
      - .offset:         136
        .size:           8
        .value_kind:     hidden_hostcall_buffer
    .group_segment_fixed_size: 0
    .kernarg_segment_align: 8
    .kernarg_segment_size: 312
    .language:       OpenCL C
    .language_version:
      - 2
      - 0
    .max_flat_workgroup_size: 512
    .name:           _ZN2at6native30tinygemm_m16n8k16_chunk_kernelINS0_10ALayout_RMILNS0_14KReductionTypeE0EEENS0_15BLayout_TC_int4ILi4ELi32EEES4_Li8ELi8EEEvPKvS8_S8_Pviiiiii
    .private_segment_fixed_size: 0
    .sgpr_count:     20
    .sgpr_spill_count: 0
    .symbol:         _ZN2at6native30tinygemm_m16n8k16_chunk_kernelINS0_10ALayout_RMILNS0_14KReductionTypeE0EEENS0_15BLayout_TC_int4ILi4ELi32EEES4_Li8ELi8EEEvPKvS8_S8_Pviiiiii.kd
    .uniform_work_group_size: 1
    .uses_dynamic_stack: false
    .vgpr_count:     33
    .vgpr_spill_count: 0
    .wavefront_size: 32
  - .args:
      - .actual_access:  read_only
        .address_space:  global
        .offset:         0
        .size:           8
        .value_kind:     global_buffer
      - .actual_access:  read_only
        .address_space:  global
        .offset:         8
        .size:           8
        .value_kind:     global_buffer
      - .actual_access:  read_only
        .address_space:  global
        .offset:         16
        .size:           8
        .value_kind:     global_buffer
      - .actual_access:  read_only
        .address_space:  global
        .offset:         24
        .size:           8
        .value_kind:     global_buffer
      - .offset:         32
        .size:           4
        .value_kind:     by_value
      - .offset:         36
        .size:           4
        .value_kind:     by_value
      - .offset:         40
        .size:           4
        .value_kind:     by_value
      - .offset:         44
        .size:           4
        .value_kind:     by_value
      - .offset:         48
        .size:           4
        .value_kind:     by_value
      - .offset:         52
        .size:           4
        .value_kind:     by_value
      - .offset:         56
        .size:           4
        .value_kind:     hidden_block_count_x
      - .offset:         60
        .size:           4
        .value_kind:     hidden_block_count_y
      - .offset:         64
        .size:           4
        .value_kind:     hidden_block_count_z
      - .offset:         68
        .size:           2
        .value_kind:     hidden_group_size_x
      - .offset:         70
        .size:           2
        .value_kind:     hidden_group_size_y
      - .offset:         72
        .size:           2
        .value_kind:     hidden_group_size_z
      - .offset:         74
        .size:           2
        .value_kind:     hidden_remainder_x
      - .offset:         76
        .size:           2
        .value_kind:     hidden_remainder_y
      - .offset:         78
        .size:           2
        .value_kind:     hidden_remainder_z
      - .offset:         96
        .size:           8
        .value_kind:     hidden_global_offset_x
      - .offset:         104
        .size:           8
        .value_kind:     hidden_global_offset_y
      - .offset:         112
        .size:           8
        .value_kind:     hidden_global_offset_z
      - .offset:         120
        .size:           2
        .value_kind:     hidden_grid_dims
      - .offset:         136
        .size:           8
        .value_kind:     hidden_hostcall_buffer
    .group_segment_fixed_size: 0
    .kernarg_segment_align: 8
    .kernarg_segment_size: 312
    .language:       OpenCL C
    .language_version:
      - 2
      - 0
    .max_flat_workgroup_size: 512
    .name:           _ZN2at6native30tinygemm_m16n8k16_chunk_kernelINS0_10ALayout_RMILNS0_14KReductionTypeE0EEENS0_15BLayout_TC_int4ILi8ELi32EEES4_Li8ELi8EEEvPKvS8_S8_Pviiiiii
    .private_segment_fixed_size: 0
    .sgpr_count:     20
    .sgpr_spill_count: 0
    .symbol:         _ZN2at6native30tinygemm_m16n8k16_chunk_kernelINS0_10ALayout_RMILNS0_14KReductionTypeE0EEENS0_15BLayout_TC_int4ILi8ELi32EEES4_Li8ELi8EEEvPKvS8_S8_Pviiiiii.kd
    .uniform_work_group_size: 1
    .uses_dynamic_stack: false
    .vgpr_count:     33
    .vgpr_spill_count: 0
    .wavefront_size: 32
  - .args:
      - .actual_access:  read_only
        .address_space:  global
        .offset:         0
        .size:           8
        .value_kind:     global_buffer
      - .actual_access:  read_only
        .address_space:  global
        .offset:         8
        .size:           8
        .value_kind:     global_buffer
      - .actual_access:  read_only
        .address_space:  global
        .offset:         16
        .size:           8
        .value_kind:     global_buffer
      - .actual_access:  read_only
        .address_space:  global
        .offset:         24
        .size:           8
        .value_kind:     global_buffer
      - .offset:         32
        .size:           4
        .value_kind:     by_value
      - .offset:         36
        .size:           4
        .value_kind:     by_value
      - .offset:         40
        .size:           4
        .value_kind:     by_value
      - .offset:         44
        .size:           4
        .value_kind:     by_value
      - .offset:         48
        .size:           4
        .value_kind:     by_value
      - .offset:         52
        .size:           4
        .value_kind:     by_value
      - .offset:         56
        .size:           4
        .value_kind:     hidden_block_count_x
      - .offset:         60
        .size:           4
        .value_kind:     hidden_block_count_y
      - .offset:         64
        .size:           4
        .value_kind:     hidden_block_count_z
      - .offset:         68
        .size:           2
        .value_kind:     hidden_group_size_x
      - .offset:         70
        .size:           2
        .value_kind:     hidden_group_size_y
      - .offset:         72
        .size:           2
        .value_kind:     hidden_group_size_z
      - .offset:         74
        .size:           2
        .value_kind:     hidden_remainder_x
      - .offset:         76
        .size:           2
        .value_kind:     hidden_remainder_y
      - .offset:         78
        .size:           2
        .value_kind:     hidden_remainder_z
      - .offset:         96
        .size:           8
        .value_kind:     hidden_global_offset_x
      - .offset:         104
        .size:           8
        .value_kind:     hidden_global_offset_y
      - .offset:         112
        .size:           8
        .value_kind:     hidden_global_offset_z
      - .offset:         120
        .size:           2
        .value_kind:     hidden_grid_dims
      - .offset:         136
        .size:           8
        .value_kind:     hidden_hostcall_buffer
    .group_segment_fixed_size: 0
    .kernarg_segment_align: 8
    .kernarg_segment_size: 312
    .language:       OpenCL C
    .language_version:
      - 2
      - 0
    .max_flat_workgroup_size: 512
    .name:           _ZN2at6native30tinygemm_m16n8k16_chunk_kernelINS0_10ALayout_RMILNS0_14KReductionTypeE0EEENS0_15BLayout_TC_int4ILi2ELi64EEES4_Li8ELi8EEEvPKvS8_S8_Pviiiiii
    .private_segment_fixed_size: 0
    .sgpr_count:     20
    .sgpr_spill_count: 0
    .symbol:         _ZN2at6native30tinygemm_m16n8k16_chunk_kernelINS0_10ALayout_RMILNS0_14KReductionTypeE0EEENS0_15BLayout_TC_int4ILi2ELi64EEES4_Li8ELi8EEEvPKvS8_S8_Pviiiiii.kd
    .uniform_work_group_size: 1
    .uses_dynamic_stack: false
    .vgpr_count:     33
    .vgpr_spill_count: 0
    .wavefront_size: 32
  - .args:
      - .actual_access:  read_only
        .address_space:  global
        .offset:         0
        .size:           8
        .value_kind:     global_buffer
      - .actual_access:  read_only
        .address_space:  global
        .offset:         8
        .size:           8
        .value_kind:     global_buffer
      - .actual_access:  read_only
        .address_space:  global
        .offset:         16
        .size:           8
        .value_kind:     global_buffer
      - .actual_access:  read_only
        .address_space:  global
        .offset:         24
        .size:           8
        .value_kind:     global_buffer
      - .offset:         32
        .size:           4
        .value_kind:     by_value
      - .offset:         36
        .size:           4
        .value_kind:     by_value
      - .offset:         40
        .size:           4
        .value_kind:     by_value
      - .offset:         44
        .size:           4
        .value_kind:     by_value
      - .offset:         48
        .size:           4
        .value_kind:     by_value
      - .offset:         52
        .size:           4
        .value_kind:     by_value
      - .offset:         56
        .size:           4
        .value_kind:     hidden_block_count_x
      - .offset:         60
        .size:           4
        .value_kind:     hidden_block_count_y
      - .offset:         64
        .size:           4
        .value_kind:     hidden_block_count_z
      - .offset:         68
        .size:           2
        .value_kind:     hidden_group_size_x
      - .offset:         70
        .size:           2
        .value_kind:     hidden_group_size_y
      - .offset:         72
        .size:           2
        .value_kind:     hidden_group_size_z
      - .offset:         74
        .size:           2
        .value_kind:     hidden_remainder_x
      - .offset:         76
        .size:           2
        .value_kind:     hidden_remainder_y
      - .offset:         78
        .size:           2
        .value_kind:     hidden_remainder_z
      - .offset:         96
        .size:           8
        .value_kind:     hidden_global_offset_x
      - .offset:         104
        .size:           8
        .value_kind:     hidden_global_offset_y
      - .offset:         112
        .size:           8
        .value_kind:     hidden_global_offset_z
      - .offset:         120
        .size:           2
        .value_kind:     hidden_grid_dims
      - .offset:         136
        .size:           8
        .value_kind:     hidden_hostcall_buffer
    .group_segment_fixed_size: 0
    .kernarg_segment_align: 8
    .kernarg_segment_size: 312
    .language:       OpenCL C
    .language_version:
      - 2
      - 0
    .max_flat_workgroup_size: 512
    .name:           _ZN2at6native30tinygemm_m16n8k16_chunk_kernelINS0_10ALayout_RMILNS0_14KReductionTypeE0EEENS0_15BLayout_TC_int4ILi4ELi64EEES4_Li8ELi8EEEvPKvS8_S8_Pviiiiii
    .private_segment_fixed_size: 0
    .sgpr_count:     20
    .sgpr_spill_count: 0
    .symbol:         _ZN2at6native30tinygemm_m16n8k16_chunk_kernelINS0_10ALayout_RMILNS0_14KReductionTypeE0EEENS0_15BLayout_TC_int4ILi4ELi64EEES4_Li8ELi8EEEvPKvS8_S8_Pviiiiii.kd
    .uniform_work_group_size: 1
    .uses_dynamic_stack: false
    .vgpr_count:     33
    .vgpr_spill_count: 0
    .wavefront_size: 32
  - .args:
      - .actual_access:  read_only
        .address_space:  global
        .offset:         0
        .size:           8
        .value_kind:     global_buffer
      - .actual_access:  read_only
        .address_space:  global
        .offset:         8
        .size:           8
        .value_kind:     global_buffer
      - .actual_access:  read_only
        .address_space:  global
        .offset:         16
        .size:           8
        .value_kind:     global_buffer
      - .actual_access:  read_only
        .address_space:  global
        .offset:         24
        .size:           8
        .value_kind:     global_buffer
      - .offset:         32
        .size:           4
        .value_kind:     by_value
      - .offset:         36
        .size:           4
        .value_kind:     by_value
      - .offset:         40
        .size:           4
        .value_kind:     by_value
      - .offset:         44
        .size:           4
        .value_kind:     by_value
      - .offset:         48
        .size:           4
        .value_kind:     by_value
      - .offset:         52
        .size:           4
        .value_kind:     by_value
      - .offset:         56
        .size:           4
        .value_kind:     hidden_block_count_x
      - .offset:         60
        .size:           4
        .value_kind:     hidden_block_count_y
      - .offset:         64
        .size:           4
        .value_kind:     hidden_block_count_z
      - .offset:         68
        .size:           2
        .value_kind:     hidden_group_size_x
      - .offset:         70
        .size:           2
        .value_kind:     hidden_group_size_y
      - .offset:         72
        .size:           2
        .value_kind:     hidden_group_size_z
      - .offset:         74
        .size:           2
        .value_kind:     hidden_remainder_x
      - .offset:         76
        .size:           2
        .value_kind:     hidden_remainder_y
      - .offset:         78
        .size:           2
        .value_kind:     hidden_remainder_z
      - .offset:         96
        .size:           8
        .value_kind:     hidden_global_offset_x
      - .offset:         104
        .size:           8
        .value_kind:     hidden_global_offset_y
      - .offset:         112
        .size:           8
        .value_kind:     hidden_global_offset_z
      - .offset:         120
        .size:           2
        .value_kind:     hidden_grid_dims
      - .offset:         136
        .size:           8
        .value_kind:     hidden_hostcall_buffer
    .group_segment_fixed_size: 0
    .kernarg_segment_align: 8
    .kernarg_segment_size: 312
    .language:       OpenCL C
    .language_version:
      - 2
      - 0
    .max_flat_workgroup_size: 512
    .name:           _ZN2at6native30tinygemm_m16n8k16_chunk_kernelINS0_10ALayout_RMILNS0_14KReductionTypeE0EEENS0_15BLayout_TC_int4ILi8ELi64EEES4_Li8ELi8EEEvPKvS8_S8_Pviiiiii
    .private_segment_fixed_size: 0
    .sgpr_count:     20
    .sgpr_spill_count: 0
    .symbol:         _ZN2at6native30tinygemm_m16n8k16_chunk_kernelINS0_10ALayout_RMILNS0_14KReductionTypeE0EEENS0_15BLayout_TC_int4ILi8ELi64EEES4_Li8ELi8EEEvPKvS8_S8_Pviiiiii.kd
    .uniform_work_group_size: 1
    .uses_dynamic_stack: false
    .vgpr_count:     33
    .vgpr_spill_count: 0
    .wavefront_size: 32
  - .args:
      - .actual_access:  read_only
        .address_space:  global
        .offset:         0
        .size:           8
        .value_kind:     global_buffer
      - .actual_access:  read_only
        .address_space:  global
        .offset:         8
        .size:           8
        .value_kind:     global_buffer
      - .actual_access:  read_only
        .address_space:  global
        .offset:         16
        .size:           8
        .value_kind:     global_buffer
      - .actual_access:  read_only
        .address_space:  global
        .offset:         24
        .size:           8
        .value_kind:     global_buffer
      - .offset:         32
        .size:           4
        .value_kind:     by_value
      - .offset:         36
        .size:           4
        .value_kind:     by_value
      - .offset:         40
        .size:           4
        .value_kind:     by_value
      - .offset:         44
        .size:           4
        .value_kind:     by_value
      - .offset:         48
        .size:           4
        .value_kind:     by_value
      - .offset:         52
        .size:           4
        .value_kind:     by_value
      - .offset:         56
        .size:           4
        .value_kind:     hidden_block_count_x
      - .offset:         60
        .size:           4
        .value_kind:     hidden_block_count_y
      - .offset:         64
        .size:           4
        .value_kind:     hidden_block_count_z
      - .offset:         68
        .size:           2
        .value_kind:     hidden_group_size_x
      - .offset:         70
        .size:           2
        .value_kind:     hidden_group_size_y
      - .offset:         72
        .size:           2
        .value_kind:     hidden_group_size_z
      - .offset:         74
        .size:           2
        .value_kind:     hidden_remainder_x
      - .offset:         76
        .size:           2
        .value_kind:     hidden_remainder_y
      - .offset:         78
        .size:           2
        .value_kind:     hidden_remainder_z
      - .offset:         96
        .size:           8
        .value_kind:     hidden_global_offset_x
      - .offset:         104
        .size:           8
        .value_kind:     hidden_global_offset_y
      - .offset:         112
        .size:           8
        .value_kind:     hidden_global_offset_z
      - .offset:         120
        .size:           2
        .value_kind:     hidden_grid_dims
      - .offset:         136
        .size:           8
        .value_kind:     hidden_hostcall_buffer
    .group_segment_fixed_size: 0
    .kernarg_segment_align: 8
    .kernarg_segment_size: 312
    .language:       OpenCL C
    .language_version:
      - 2
      - 0
    .max_flat_workgroup_size: 512
    .name:           _ZN2at6native30tinygemm_m16n8k16_chunk_kernelINS0_10ALayout_RMILNS0_14KReductionTypeE0EEENS0_15BLayout_TC_int4ILi2ELi128EEES4_Li8ELi8EEEvPKvS8_S8_Pviiiiii
    .private_segment_fixed_size: 0
    .sgpr_count:     20
    .sgpr_spill_count: 0
    .symbol:         _ZN2at6native30tinygemm_m16n8k16_chunk_kernelINS0_10ALayout_RMILNS0_14KReductionTypeE0EEENS0_15BLayout_TC_int4ILi2ELi128EEES4_Li8ELi8EEEvPKvS8_S8_Pviiiiii.kd
    .uniform_work_group_size: 1
    .uses_dynamic_stack: false
    .vgpr_count:     33
    .vgpr_spill_count: 0
    .wavefront_size: 32
  - .args:
      - .actual_access:  read_only
        .address_space:  global
        .offset:         0
        .size:           8
        .value_kind:     global_buffer
      - .actual_access:  read_only
        .address_space:  global
        .offset:         8
        .size:           8
        .value_kind:     global_buffer
      - .actual_access:  read_only
        .address_space:  global
        .offset:         16
        .size:           8
        .value_kind:     global_buffer
      - .actual_access:  read_only
        .address_space:  global
        .offset:         24
        .size:           8
        .value_kind:     global_buffer
      - .offset:         32
        .size:           4
        .value_kind:     by_value
      - .offset:         36
        .size:           4
        .value_kind:     by_value
      - .offset:         40
        .size:           4
        .value_kind:     by_value
      - .offset:         44
        .size:           4
        .value_kind:     by_value
      - .offset:         48
        .size:           4
        .value_kind:     by_value
      - .offset:         52
        .size:           4
        .value_kind:     by_value
      - .offset:         56
        .size:           4
        .value_kind:     hidden_block_count_x
      - .offset:         60
        .size:           4
        .value_kind:     hidden_block_count_y
      - .offset:         64
        .size:           4
        .value_kind:     hidden_block_count_z
      - .offset:         68
        .size:           2
        .value_kind:     hidden_group_size_x
      - .offset:         70
        .size:           2
        .value_kind:     hidden_group_size_y
      - .offset:         72
        .size:           2
        .value_kind:     hidden_group_size_z
      - .offset:         74
        .size:           2
        .value_kind:     hidden_remainder_x
      - .offset:         76
        .size:           2
        .value_kind:     hidden_remainder_y
      - .offset:         78
        .size:           2
        .value_kind:     hidden_remainder_z
      - .offset:         96
        .size:           8
        .value_kind:     hidden_global_offset_x
      - .offset:         104
        .size:           8
        .value_kind:     hidden_global_offset_y
      - .offset:         112
        .size:           8
        .value_kind:     hidden_global_offset_z
      - .offset:         120
        .size:           2
        .value_kind:     hidden_grid_dims
      - .offset:         136
        .size:           8
        .value_kind:     hidden_hostcall_buffer
    .group_segment_fixed_size: 0
    .kernarg_segment_align: 8
    .kernarg_segment_size: 312
    .language:       OpenCL C
    .language_version:
      - 2
      - 0
    .max_flat_workgroup_size: 512
    .name:           _ZN2at6native30tinygemm_m16n8k16_chunk_kernelINS0_10ALayout_RMILNS0_14KReductionTypeE0EEENS0_15BLayout_TC_int4ILi4ELi128EEES4_Li8ELi8EEEvPKvS8_S8_Pviiiiii
    .private_segment_fixed_size: 0
    .sgpr_count:     20
    .sgpr_spill_count: 0
    .symbol:         _ZN2at6native30tinygemm_m16n8k16_chunk_kernelINS0_10ALayout_RMILNS0_14KReductionTypeE0EEENS0_15BLayout_TC_int4ILi4ELi128EEES4_Li8ELi8EEEvPKvS8_S8_Pviiiiii.kd
    .uniform_work_group_size: 1
    .uses_dynamic_stack: false
    .vgpr_count:     33
    .vgpr_spill_count: 0
    .wavefront_size: 32
  - .args:
      - .actual_access:  read_only
        .address_space:  global
        .offset:         0
        .size:           8
        .value_kind:     global_buffer
      - .actual_access:  read_only
        .address_space:  global
        .offset:         8
        .size:           8
        .value_kind:     global_buffer
      - .actual_access:  read_only
        .address_space:  global
        .offset:         16
        .size:           8
        .value_kind:     global_buffer
      - .actual_access:  read_only
        .address_space:  global
        .offset:         24
        .size:           8
        .value_kind:     global_buffer
      - .offset:         32
        .size:           4
        .value_kind:     by_value
      - .offset:         36
        .size:           4
        .value_kind:     by_value
      - .offset:         40
        .size:           4
        .value_kind:     by_value
      - .offset:         44
        .size:           4
        .value_kind:     by_value
      - .offset:         48
        .size:           4
        .value_kind:     by_value
      - .offset:         52
        .size:           4
        .value_kind:     by_value
      - .offset:         56
        .size:           4
        .value_kind:     hidden_block_count_x
      - .offset:         60
        .size:           4
        .value_kind:     hidden_block_count_y
      - .offset:         64
        .size:           4
        .value_kind:     hidden_block_count_z
      - .offset:         68
        .size:           2
        .value_kind:     hidden_group_size_x
      - .offset:         70
        .size:           2
        .value_kind:     hidden_group_size_y
      - .offset:         72
        .size:           2
        .value_kind:     hidden_group_size_z
      - .offset:         74
        .size:           2
        .value_kind:     hidden_remainder_x
      - .offset:         76
        .size:           2
        .value_kind:     hidden_remainder_y
      - .offset:         78
        .size:           2
        .value_kind:     hidden_remainder_z
      - .offset:         96
        .size:           8
        .value_kind:     hidden_global_offset_x
      - .offset:         104
        .size:           8
        .value_kind:     hidden_global_offset_y
      - .offset:         112
        .size:           8
        .value_kind:     hidden_global_offset_z
      - .offset:         120
        .size:           2
        .value_kind:     hidden_grid_dims
      - .offset:         136
        .size:           8
        .value_kind:     hidden_hostcall_buffer
    .group_segment_fixed_size: 0
    .kernarg_segment_align: 8
    .kernarg_segment_size: 312
    .language:       OpenCL C
    .language_version:
      - 2
      - 0
    .max_flat_workgroup_size: 512
    .name:           _ZN2at6native30tinygemm_m16n8k16_chunk_kernelINS0_10ALayout_RMILNS0_14KReductionTypeE0EEENS0_15BLayout_TC_int4ILi8ELi128EEES4_Li8ELi8EEEvPKvS8_S8_Pviiiiii
    .private_segment_fixed_size: 0
    .sgpr_count:     20
    .sgpr_spill_count: 0
    .symbol:         _ZN2at6native30tinygemm_m16n8k16_chunk_kernelINS0_10ALayout_RMILNS0_14KReductionTypeE0EEENS0_15BLayout_TC_int4ILi8ELi128EEES4_Li8ELi8EEEvPKvS8_S8_Pviiiiii.kd
    .uniform_work_group_size: 1
    .uses_dynamic_stack: false
    .vgpr_count:     33
    .vgpr_spill_count: 0
    .wavefront_size: 32
  - .args:
      - .actual_access:  read_only
        .address_space:  global
        .offset:         0
        .size:           8
        .value_kind:     global_buffer
      - .actual_access:  read_only
        .address_space:  global
        .offset:         8
        .size:           8
        .value_kind:     global_buffer
      - .actual_access:  read_only
        .address_space:  global
        .offset:         16
        .size:           8
        .value_kind:     global_buffer
      - .actual_access:  read_only
        .address_space:  global
        .offset:         24
        .size:           8
        .value_kind:     global_buffer
      - .offset:         32
        .size:           4
        .value_kind:     by_value
      - .offset:         36
        .size:           4
        .value_kind:     by_value
      - .offset:         40
        .size:           4
        .value_kind:     by_value
      - .offset:         44
        .size:           4
        .value_kind:     by_value
      - .offset:         48
        .size:           4
        .value_kind:     by_value
      - .offset:         52
        .size:           4
        .value_kind:     by_value
      - .offset:         56
        .size:           4
        .value_kind:     hidden_block_count_x
      - .offset:         60
        .size:           4
        .value_kind:     hidden_block_count_y
      - .offset:         64
        .size:           4
        .value_kind:     hidden_block_count_z
      - .offset:         68
        .size:           2
        .value_kind:     hidden_group_size_x
      - .offset:         70
        .size:           2
        .value_kind:     hidden_group_size_y
      - .offset:         72
        .size:           2
        .value_kind:     hidden_group_size_z
      - .offset:         74
        .size:           2
        .value_kind:     hidden_remainder_x
      - .offset:         76
        .size:           2
        .value_kind:     hidden_remainder_y
      - .offset:         78
        .size:           2
        .value_kind:     hidden_remainder_z
      - .offset:         96
        .size:           8
        .value_kind:     hidden_global_offset_x
      - .offset:         104
        .size:           8
        .value_kind:     hidden_global_offset_y
      - .offset:         112
        .size:           8
        .value_kind:     hidden_global_offset_z
      - .offset:         120
        .size:           2
        .value_kind:     hidden_grid_dims
      - .offset:         136
        .size:           8
        .value_kind:     hidden_hostcall_buffer
    .group_segment_fixed_size: 0
    .kernarg_segment_align: 8
    .kernarg_segment_size: 312
    .language:       OpenCL C
    .language_version:
      - 2
      - 0
    .max_flat_workgroup_size: 512
    .name:           _ZN2at6native30tinygemm_m16n8k16_chunk_kernelINS0_10ALayout_RMILNS0_14KReductionTypeE0EEENS0_15BLayout_TC_int4ILi2ELi256EEES4_Li8ELi8EEEvPKvS8_S8_Pviiiiii
    .private_segment_fixed_size: 0
    .sgpr_count:     20
    .sgpr_spill_count: 0
    .symbol:         _ZN2at6native30tinygemm_m16n8k16_chunk_kernelINS0_10ALayout_RMILNS0_14KReductionTypeE0EEENS0_15BLayout_TC_int4ILi2ELi256EEES4_Li8ELi8EEEvPKvS8_S8_Pviiiiii.kd
    .uniform_work_group_size: 1
    .uses_dynamic_stack: false
    .vgpr_count:     33
    .vgpr_spill_count: 0
    .wavefront_size: 32
  - .args:
      - .actual_access:  read_only
        .address_space:  global
        .offset:         0
        .size:           8
        .value_kind:     global_buffer
      - .actual_access:  read_only
        .address_space:  global
        .offset:         8
        .size:           8
        .value_kind:     global_buffer
      - .actual_access:  read_only
        .address_space:  global
        .offset:         16
        .size:           8
        .value_kind:     global_buffer
      - .actual_access:  read_only
        .address_space:  global
        .offset:         24
        .size:           8
        .value_kind:     global_buffer
      - .offset:         32
        .size:           4
        .value_kind:     by_value
      - .offset:         36
        .size:           4
        .value_kind:     by_value
      - .offset:         40
        .size:           4
        .value_kind:     by_value
      - .offset:         44
        .size:           4
        .value_kind:     by_value
      - .offset:         48
        .size:           4
        .value_kind:     by_value
      - .offset:         52
        .size:           4
        .value_kind:     by_value
      - .offset:         56
        .size:           4
        .value_kind:     hidden_block_count_x
      - .offset:         60
        .size:           4
        .value_kind:     hidden_block_count_y
      - .offset:         64
        .size:           4
        .value_kind:     hidden_block_count_z
      - .offset:         68
        .size:           2
        .value_kind:     hidden_group_size_x
      - .offset:         70
        .size:           2
        .value_kind:     hidden_group_size_y
      - .offset:         72
        .size:           2
        .value_kind:     hidden_group_size_z
      - .offset:         74
        .size:           2
        .value_kind:     hidden_remainder_x
      - .offset:         76
        .size:           2
        .value_kind:     hidden_remainder_y
      - .offset:         78
        .size:           2
        .value_kind:     hidden_remainder_z
      - .offset:         96
        .size:           8
        .value_kind:     hidden_global_offset_x
      - .offset:         104
        .size:           8
        .value_kind:     hidden_global_offset_y
      - .offset:         112
        .size:           8
        .value_kind:     hidden_global_offset_z
      - .offset:         120
        .size:           2
        .value_kind:     hidden_grid_dims
      - .offset:         136
        .size:           8
        .value_kind:     hidden_hostcall_buffer
    .group_segment_fixed_size: 0
    .kernarg_segment_align: 8
    .kernarg_segment_size: 312
    .language:       OpenCL C
    .language_version:
      - 2
      - 0
    .max_flat_workgroup_size: 512
    .name:           _ZN2at6native30tinygemm_m16n8k16_chunk_kernelINS0_10ALayout_RMILNS0_14KReductionTypeE0EEENS0_15BLayout_TC_int4ILi4ELi256EEES4_Li8ELi8EEEvPKvS8_S8_Pviiiiii
    .private_segment_fixed_size: 0
    .sgpr_count:     20
    .sgpr_spill_count: 0
    .symbol:         _ZN2at6native30tinygemm_m16n8k16_chunk_kernelINS0_10ALayout_RMILNS0_14KReductionTypeE0EEENS0_15BLayout_TC_int4ILi4ELi256EEES4_Li8ELi8EEEvPKvS8_S8_Pviiiiii.kd
    .uniform_work_group_size: 1
    .uses_dynamic_stack: false
    .vgpr_count:     33
    .vgpr_spill_count: 0
    .wavefront_size: 32
  - .args:
      - .actual_access:  read_only
        .address_space:  global
        .offset:         0
        .size:           8
        .value_kind:     global_buffer
      - .actual_access:  read_only
        .address_space:  global
        .offset:         8
        .size:           8
        .value_kind:     global_buffer
      - .actual_access:  read_only
        .address_space:  global
        .offset:         16
        .size:           8
        .value_kind:     global_buffer
      - .actual_access:  read_only
        .address_space:  global
        .offset:         24
        .size:           8
        .value_kind:     global_buffer
      - .offset:         32
        .size:           4
        .value_kind:     by_value
      - .offset:         36
        .size:           4
        .value_kind:     by_value
      - .offset:         40
        .size:           4
        .value_kind:     by_value
      - .offset:         44
        .size:           4
        .value_kind:     by_value
      - .offset:         48
        .size:           4
        .value_kind:     by_value
      - .offset:         52
        .size:           4
        .value_kind:     by_value
      - .offset:         56
        .size:           4
        .value_kind:     hidden_block_count_x
      - .offset:         60
        .size:           4
        .value_kind:     hidden_block_count_y
      - .offset:         64
        .size:           4
        .value_kind:     hidden_block_count_z
      - .offset:         68
        .size:           2
        .value_kind:     hidden_group_size_x
      - .offset:         70
        .size:           2
        .value_kind:     hidden_group_size_y
      - .offset:         72
        .size:           2
        .value_kind:     hidden_group_size_z
      - .offset:         74
        .size:           2
        .value_kind:     hidden_remainder_x
      - .offset:         76
        .size:           2
        .value_kind:     hidden_remainder_y
      - .offset:         78
        .size:           2
        .value_kind:     hidden_remainder_z
      - .offset:         96
        .size:           8
        .value_kind:     hidden_global_offset_x
      - .offset:         104
        .size:           8
        .value_kind:     hidden_global_offset_y
      - .offset:         112
        .size:           8
        .value_kind:     hidden_global_offset_z
      - .offset:         120
        .size:           2
        .value_kind:     hidden_grid_dims
      - .offset:         136
        .size:           8
        .value_kind:     hidden_hostcall_buffer
    .group_segment_fixed_size: 0
    .kernarg_segment_align: 8
    .kernarg_segment_size: 312
    .language:       OpenCL C
    .language_version:
      - 2
      - 0
    .max_flat_workgroup_size: 512
    .name:           _ZN2at6native30tinygemm_m16n8k16_chunk_kernelINS0_10ALayout_RMILNS0_14KReductionTypeE0EEENS0_15BLayout_TC_int4ILi8ELi256EEES4_Li8ELi8EEEvPKvS8_S8_Pviiiiii
    .private_segment_fixed_size: 0
    .sgpr_count:     20
    .sgpr_spill_count: 0
    .symbol:         _ZN2at6native30tinygemm_m16n8k16_chunk_kernelINS0_10ALayout_RMILNS0_14KReductionTypeE0EEENS0_15BLayout_TC_int4ILi8ELi256EEES4_Li8ELi8EEEvPKvS8_S8_Pviiiiii.kd
    .uniform_work_group_size: 1
    .uses_dynamic_stack: false
    .vgpr_count:     33
    .vgpr_spill_count: 0
    .wavefront_size: 32
  - .args:
      - .offset:         0
        .size:           24
        .value_kind:     by_value
      - .offset:         24
        .size:           40
        .value_kind:     by_value
    .group_segment_fixed_size: 0
    .kernarg_segment_align: 8
    .kernarg_segment_size: 64
    .language:       OpenCL C
    .language_version:
      - 2
      - 0
    .max_flat_workgroup_size: 1024
    .name:           _ZN2at6native31matrix_to_m16n8k16_Bint4_layoutILi2EEEvN5torch10headeronly6detail27GenericPackedTensorAccessorINS4_14TensorAccessorIN3c108ArrayRefIlEEhLm1ENS3_17RestrictPtrTraitsEiEENS_6detail16IndexBoundsCheckILm2EiEEhLm2ESA_iEENS5_INS6_IS9_iLm3ESA_iEENSD_ILm4EiEEiLm4ESA_iEE
    .private_segment_fixed_size: 0
    .sgpr_count:     14
    .sgpr_spill_count: 0
    .symbol:         _ZN2at6native31matrix_to_m16n8k16_Bint4_layoutILi2EEEvN5torch10headeronly6detail27GenericPackedTensorAccessorINS4_14TensorAccessorIN3c108ArrayRefIlEEhLm1ENS3_17RestrictPtrTraitsEiEENS_6detail16IndexBoundsCheckILm2EiEEhLm2ESA_iEENS5_INS6_IS9_iLm3ESA_iEENSD_ILm4EiEEiLm4ESA_iEE.kd
    .uniform_work_group_size: 1
    .uses_dynamic_stack: false
    .vgpr_count:     10
    .vgpr_spill_count: 0
    .wavefront_size: 32
  - .args:
      - .offset:         0
        .size:           24
        .value_kind:     by_value
      - .offset:         24
        .size:           40
        .value_kind:     by_value
    .group_segment_fixed_size: 0
    .kernarg_segment_align: 8
    .kernarg_segment_size: 64
    .language:       OpenCL C
    .language_version:
      - 2
      - 0
    .max_flat_workgroup_size: 1024
    .name:           _ZN2at6native31matrix_to_m16n8k16_Bint4_layoutILi4EEEvN5torch10headeronly6detail27GenericPackedTensorAccessorINS4_14TensorAccessorIN3c108ArrayRefIlEEhLm1ENS3_17RestrictPtrTraitsEiEENS_6detail16IndexBoundsCheckILm2EiEEhLm2ESA_iEENS5_INS6_IS9_iLm3ESA_iEENSD_ILm4EiEEiLm4ESA_iEE
    .private_segment_fixed_size: 0
    .sgpr_count:     14
    .sgpr_spill_count: 0
    .symbol:         _ZN2at6native31matrix_to_m16n8k16_Bint4_layoutILi4EEEvN5torch10headeronly6detail27GenericPackedTensorAccessorINS4_14TensorAccessorIN3c108ArrayRefIlEEhLm1ENS3_17RestrictPtrTraitsEiEENS_6detail16IndexBoundsCheckILm2EiEEhLm2ESA_iEENS5_INS6_IS9_iLm3ESA_iEENSD_ILm4EiEEiLm4ESA_iEE.kd
    .uniform_work_group_size: 1
    .uses_dynamic_stack: false
    .vgpr_count:     14
    .vgpr_spill_count: 0
    .wavefront_size: 32
  - .args:
      - .offset:         0
        .size:           24
        .value_kind:     by_value
      - .offset:         24
        .size:           40
        .value_kind:     by_value
    .group_segment_fixed_size: 0
    .kernarg_segment_align: 8
    .kernarg_segment_size: 64
    .language:       OpenCL C
    .language_version:
      - 2
      - 0
    .max_flat_workgroup_size: 1024
    .name:           _ZN2at6native31matrix_to_m16n8k16_Bint4_layoutILi8EEEvN5torch10headeronly6detail27GenericPackedTensorAccessorINS4_14TensorAccessorIN3c108ArrayRefIlEEhLm1ENS3_17RestrictPtrTraitsEiEENS_6detail16IndexBoundsCheckILm2EiEEhLm2ESA_iEENS5_INS6_IS9_iLm3ESA_iEENSD_ILm4EiEEiLm4ESA_iEE
    .private_segment_fixed_size: 0
    .sgpr_count:     14
    .sgpr_spill_count: 0
    .symbol:         _ZN2at6native31matrix_to_m16n8k16_Bint4_layoutILi8EEEvN5torch10headeronly6detail27GenericPackedTensorAccessorINS4_14TensorAccessorIN3c108ArrayRefIlEEhLm1ENS3_17RestrictPtrTraitsEiEENS_6detail16IndexBoundsCheckILm2EiEEhLm2ESA_iEENS5_INS6_IS9_iLm3ESA_iEENSD_ILm4EiEEiLm4ESA_iEE.kd
    .uniform_work_group_size: 1
    .uses_dynamic_stack: false
    .vgpr_count:     14
    .vgpr_spill_count: 0
    .wavefront_size: 32
amdhsa.target:   amdgcn-amd-amdhsa--gfx1250
amdhsa.version:
  - 1
  - 2
...

	.end_amdgpu_metadata
